;; amdgpu-corpus repo=ROCm/rocFFT kind=compiled arch=gfx1100 opt=O3
	.text
	.amdgcn_target "amdgcn-amd-amdhsa--gfx1100"
	.amdhsa_code_object_version 6
	.protected	bluestein_single_fwd_len936_dim1_dp_op_CI_CI ; -- Begin function bluestein_single_fwd_len936_dim1_dp_op_CI_CI
	.globl	bluestein_single_fwd_len936_dim1_dp_op_CI_CI
	.p2align	8
	.type	bluestein_single_fwd_len936_dim1_dp_op_CI_CI,@function
bluestein_single_fwd_len936_dim1_dp_op_CI_CI: ; @bluestein_single_fwd_len936_dim1_dp_op_CI_CI
; %bb.0:
	s_load_b128 s[16:19], s[0:1], 0x28
	v_mul_u32_u24_e32 v1, 0x349, v0
	s_mov_b32 s2, exec_lo
	s_delay_alu instid0(VALU_DEP_1) | instskip(NEXT) | instid1(VALU_DEP_1)
	v_lshrrev_b32_e32 v1, 16, v1
	v_mad_u64_u32 v[236:237], null, s15, 3, v[1:2]
	v_mov_b32_e32 v237, 0
                                        ; kill: def $vgpr2 killed $sgpr0 killed $exec
	s_waitcnt lgkmcnt(0)
	s_delay_alu instid0(VALU_DEP_1)
	v_cmpx_gt_u64_e64 s[16:17], v[236:237]
	s_cbranch_execz .LBB0_10
; %bb.1:
	s_clause 0x1
	s_load_b128 s[4:7], s[0:1], 0x18
	s_load_b128 s[8:11], s[0:1], 0x0
	v_mul_lo_u16 v1, 0x4e, v1
	v_mul_hi_u32 v16, 0xaaaaaaab, v236
	s_delay_alu instid0(VALU_DEP_2) | instskip(NEXT) | instid1(VALU_DEP_2)
	v_sub_nc_u16 v0, v0, v1
	v_lshrrev_b32_e32 v16, 1, v16
	s_delay_alu instid0(VALU_DEP_2)
	v_and_b32_e32 v255, 0xffff, v0
	s_waitcnt lgkmcnt(0)
	s_load_b128 s[12:15], s[4:5], 0x0
	s_waitcnt lgkmcnt(0)
	v_mad_u64_u32 v[1:2], null, s14, v236, 0
	v_mad_u64_u32 v[3:4], null, s12, v255, 0
	s_mul_hi_u32 s3, s12, 0x1d40
	s_mul_i32 s4, s12, 0x1d40
	s_mul_i32 s5, s13, 0xffffe7a0
	;; [unrolled: 1-line block ×3, first 2 shown]
	s_delay_alu instid0(VALU_DEP_1) | instskip(NEXT) | instid1(VALU_DEP_1)
	v_mad_u64_u32 v[7:8], null, s15, v236, v[2:3]
	v_dual_mov_b32 v2, v7 :: v_dual_lshlrev_b32 v15, 4, v255
	v_add_co_u32 v226, null, 0xea, v255
	v_lshlrev_b32_e32 v173, 1, v255
	s_delay_alu instid0(VALU_DEP_3) | instskip(NEXT) | instid1(VALU_DEP_4)
	v_lshlrev_b64 v[1:2], 4, v[1:2]
	v_add_co_u32 v9, s2, s8, v15
	s_delay_alu instid0(VALU_DEP_1) | instskip(SKIP_1) | instid1(VALU_DEP_2)
	v_add_co_ci_u32_e64 v10, null, s9, 0, s2
	s_mul_i32 s2, s13, 0x1d40
	v_add_co_u32 v13, vcc_lo, 0x1000, v9
	s_delay_alu instid0(VALU_DEP_2) | instskip(SKIP_3) | instid1(VALU_DEP_3)
	v_add_co_ci_u32_e32 v14, vcc_lo, 0, v10, vcc_lo
	v_add_co_u32 v5, vcc_lo, 0x2000, v9
	v_add_co_ci_u32_e32 v6, vcc_lo, 0, v10, vcc_lo
	v_add_co_u32 v44, vcc_lo, 0x3000, v9
	v_mad_u64_u32 v[8:9], null, s13, v255, v[4:5]
	v_add_co_ci_u32_e32 v45, vcc_lo, 0, v10, vcc_lo
	v_add_co_u32 v1, vcc_lo, s18, v1
	v_add_co_ci_u32_e32 v2, vcc_lo, s19, v2, vcc_lo
	s_delay_alu instid0(VALU_DEP_4)
	v_mov_b32_e32 v4, v8
	s_clause 0x7
	global_load_b128 v[17:20], v15, s[8:9]
	global_load_b128 v[21:24], v15, s[8:9] offset:1248
	global_load_b128 v[25:28], v15, s[8:9] offset:2496
	;; [unrolled: 1-line block ×3, first 2 shown]
	global_load_b128 v[138:141], v[13:14], off offset:3392
	global_load_b128 v[134:137], v[5:6], off offset:544
	;; [unrolled: 1-line block ×4, first 2 shown]
	v_lshlrev_b64 v[3:4], 4, v[3:4]
	s_add_i32 s3, s3, s2
	s_mul_hi_u32 s13, s12, 0xffffe7a0
	s_clause 0x1
	global_load_b128 v[142:145], v[13:14], off offset:896
	global_load_b128 v[146:149], v[44:45], off offset:192
	s_sub_i32 s2, s13, s12
	v_add_co_u32 v1, vcc_lo, v1, v3
	v_add_co_ci_u32_e32 v2, vcc_lo, v2, v4, vcc_lo
	s_add_i32 s2, s2, s5
	s_delay_alu instid0(VALU_DEP_2) | instskip(NEXT) | instid1(VALU_DEP_2)
	v_add_co_u32 v5, vcc_lo, v1, s4
	v_add_co_ci_u32_e32 v6, vcc_lo, s3, v2, vcc_lo
	s_delay_alu instid0(VALU_DEP_2) | instskip(NEXT) | instid1(VALU_DEP_2)
	v_add_co_u32 v9, vcc_lo, v5, s14
	v_add_co_ci_u32_e32 v10, vcc_lo, s2, v6, vcc_lo
	s_clause 0x1
	global_load_b128 v[1:4], v[1:2], off
	global_load_b128 v[5:8], v[5:6], off
	v_add_co_u32 v40, vcc_lo, v9, s4
	v_add_co_ci_u32_e32 v41, vcc_lo, s3, v10, vcc_lo
	s_clause 0x1
	global_load_b128 v[9:12], v[9:10], off
	global_load_b128 v[48:51], v[40:41], off
	v_add_co_u32 v42, vcc_lo, v40, s14
	v_add_co_ci_u32_e32 v43, vcc_lo, s2, v41, vcc_lo
	s_delay_alu instid0(VALU_DEP_2) | instskip(NEXT) | instid1(VALU_DEP_2)
	v_add_co_u32 v46, vcc_lo, v42, s4
	v_add_co_ci_u32_e32 v47, vcc_lo, s3, v43, vcc_lo
	global_load_b128 v[52:55], v[42:43], off
	v_add_co_u32 v40, vcc_lo, v46, s14
	v_add_co_ci_u32_e32 v41, vcc_lo, s2, v47, vcc_lo
	global_load_b128 v[56:59], v[46:47], off
	;; [unrolled: 3-line block ×5, first 2 shown]
	v_add_co_u32 v76, vcc_lo, v40, s14
	v_add_co_ci_u32_e32 v77, vcc_lo, s2, v41, vcc_lo
	s_delay_alu instid0(VALU_DEP_2) | instskip(NEXT) | instid1(VALU_DEP_2)
	v_add_co_u32 v80, vcc_lo, v76, s4
	v_add_co_ci_u32_e32 v81, vcc_lo, s3, v77, vcc_lo
	global_load_b128 v[72:75], v[40:41], off
	global_load_b128 v[37:40], v[13:14], off offset:2144
	global_load_b128 v[76:79], v[76:77], off
	global_load_b128 v[41:44], v[44:45], off offset:1440
	global_load_b128 v[80:83], v[80:81], off
	s_load_b128 s[4:7], s[6:7], 0x0
	v_cmp_gt_u16_e32 vcc_lo, 0x48, v0
	s_waitcnt vmcnt(23)
	scratch_store_b128 off, v[17:20], off   ; 16-byte Folded Spill
	s_waitcnt vmcnt(22)
	scratch_store_b128 off, v[21:24], off offset:16 ; 16-byte Folded Spill
	s_waitcnt vmcnt(18)
	s_clause 0x3
	scratch_store_b128 off, v[134:137], off offset:96
	scratch_store_b128 off, v[138:141], off offset:112
	;; [unrolled: 1-line block ×4, first 2 shown]
	s_waitcnt vmcnt(17)
	scratch_store_b128 off, v[130:133], off offset:80 ; 16-byte Folded Spill
	s_waitcnt vmcnt(16)
	scratch_store_b128 off, v[33:36], off offset:64 ; 16-byte Folded Spill
	;; [unrolled: 2-line block ×4, first 2 shown]
	s_waitcnt vmcnt(13)
	v_mul_f64 v[13:14], v[3:4], v[19:20]
	v_mul_f64 v[84:85], v[1:2], v[19:20]
	s_waitcnt vmcnt(12)
	v_mul_f64 v[86:87], v[7:8], v[140:141]
	v_mul_f64 v[88:89], v[5:6], v[140:141]
	;; [unrolled: 3-line block ×9, first 2 shown]
	v_fma_f64 v[1:2], v[1:2], v[17:18], v[13:14]
	v_fma_f64 v[3:4], v[3:4], v[17:18], -v[84:85]
	v_fma_f64 v[5:6], v[5:6], v[138:139], v[86:87]
	v_fma_f64 v[7:8], v[7:8], v[138:139], -v[88:89]
	s_waitcnt vmcnt(4)
	v_mul_f64 v[118:119], v[74:75], v[148:149]
	v_mul_f64 v[120:121], v[72:73], v[148:149]
	s_waitcnt vmcnt(2)
	v_mul_f64 v[122:123], v[78:79], v[39:40]
	v_mul_f64 v[124:125], v[76:77], v[39:40]
	;; [unrolled: 3-line block ×3, first 2 shown]
	v_fma_f64 v[84:85], v[9:10], v[21:22], v[90:91]
	v_fma_f64 v[86:87], v[11:12], v[21:22], -v[92:93]
	v_fma_f64 v[48:49], v[48:49], v[134:135], v[94:95]
	v_fma_f64 v[50:51], v[50:51], v[134:135], -v[96:97]
	v_lshl_add_u32 v9, v16, 1, v16
	s_clause 0x1
	scratch_store_b128 off, v[37:40], off offset:160
	scratch_store_b128 off, v[41:44], off offset:176
	v_fma_f64 v[52:53], v[52:53], v[25:26], v[98:99]
	v_fma_f64 v[54:55], v[54:55], v[25:26], -v[100:101]
	v_sub_nc_u32_e32 v9, v236, v9
	v_fma_f64 v[56:57], v[56:57], v[130:131], v[102:103]
	v_fma_f64 v[58:59], v[58:59], v[130:131], -v[104:105]
	s_delay_alu instid0(VALU_DEP_3) | instskip(SKIP_2) | instid1(VALU_DEP_3)
	v_mul_u32_u24_e32 v9, 0x3a8, v9
	v_fma_f64 v[60:61], v[60:61], v[29:30], v[106:107]
	v_fma_f64 v[62:63], v[62:63], v[29:30], -v[108:109]
	v_lshlrev_b32_e32 v13, 4, v9
	v_add_co_u32 v9, s2, 0x4e, v255
	v_fma_f64 v[64:65], v[64:65], v[33:34], v[110:111]
	v_fma_f64 v[66:67], v[66:67], v[33:34], -v[112:113]
	s_delay_alu instid0(VALU_DEP_4)
	v_add_nc_u32_e32 v12, v15, v13
	v_lshl_add_u32 v225, v255, 5, v13
	v_fma_f64 v[68:69], v[68:69], v[142:143], v[114:115]
	v_fma_f64 v[70:71], v[70:71], v[142:143], -v[116:117]
	v_lshl_add_u32 v224, v9, 5, v13
	v_lshl_add_u32 v222, v226, 5, v13
	v_lshlrev_b32_e32 v228, 1, v9
	v_fma_f64 v[72:73], v[72:73], v[146:147], v[118:119]
	v_fma_f64 v[74:75], v[74:75], v[146:147], -v[120:121]
	v_fma_f64 v[76:77], v[76:77], v[37:38], v[122:123]
	v_fma_f64 v[78:79], v[78:79], v[37:38], -v[124:125]
	;; [unrolled: 2-line block ×3, first 2 shown]
	ds_store_b128 v12, v[1:4]
	ds_store_b128 v12, v[84:87] offset:1248
	ds_store_b128 v12, v[5:8] offset:7488
	;; [unrolled: 1-line block ×11, first 2 shown]
	s_waitcnt lgkmcnt(0)
	s_waitcnt_vscnt null, 0x0
	s_barrier
	buffer_gl0_inv
	ds_load_b128 v[1:4], v12 offset:7488
	ds_load_b128 v[5:8], v12
	ds_load_b128 v[48:51], v12 offset:1248
	ds_load_b128 v[52:55], v12 offset:8736
	;; [unrolled: 1-line block ×10, first 2 shown]
	s_waitcnt lgkmcnt(0)
	s_barrier
	buffer_gl0_inv
	v_add_f64 v[1:2], v[5:6], -v[1:2]
	v_add_f64 v[3:4], v[7:8], -v[3:4]
	;; [unrolled: 1-line block ×12, first 2 shown]
	v_fma_f64 v[88:89], v[5:6], 2.0, -v[1:2]
	v_fma_f64 v[90:91], v[7:8], 2.0, -v[3:4]
	;; [unrolled: 1-line block ×12, first 2 shown]
	v_add_co_ci_u32_e64 v8, null, 0, 0, s2
	v_add_co_u32 v227, s2, 0x9c, v255
	s_delay_alu instid0(VALU_DEP_1) | instskip(SKIP_4) | instid1(VALU_DEP_1)
	v_add_co_ci_u32_e64 v5, null, 0, 0, s2
	v_add_co_u32 v14, s2, 0x138, v255
	v_and_b32_e32 v7, 1, v255
	v_add_co_ci_u32_e64 v5, null, 0, 0, s2
	v_add_co_u32 v15, s2, 0x186, v255
	v_add_co_ci_u32_e64 v5, null, 0, 0, s2
	s_delay_alu instid0(VALU_DEP_4)
	v_lshlrev_b32_e32 v5, 4, v7
	v_lshl_add_u32 v223, v227, 5, v13
	v_lshl_add_u32 v221, v14, 5, v13
	;; [unrolled: 1-line block ×3, first 2 shown]
	ds_store_b128 v225, v[88:91]
	ds_store_b128 v225, v[1:4] offset:16
	ds_store_b128 v224, v[48:51]
	ds_store_b128 v224, v[52:55] offset:16
	;; [unrolled: 2-line block ×6, first 2 shown]
	s_waitcnt lgkmcnt(0)
	s_barrier
	buffer_gl0_inv
	global_load_b128 v[56:59], v5, s[10:11]
	ds_load_b128 v[1:4], v12 offset:7488
	ds_load_b128 v[48:51], v12 offset:8736
	ds_load_b128 v[52:55], v12 offset:9984
	ds_load_b128 v[60:63], v12 offset:11232
	ds_load_b128 v[64:67], v12 offset:12480
	ds_load_b128 v[68:71], v12 offset:13728
	s_load_b64 s[2:3], s[0:1], 0x38
	v_lshlrev_b32_e32 v0, 1, v227
	s_delay_alu instid0(VALU_DEP_1) | instskip(NEXT) | instid1(VALU_DEP_1)
	v_and_or_b32 v0, 0x3fc, v0, v7
	v_lshl_add_u32 v246, v0, 4, v13
	s_waitcnt vmcnt(0) lgkmcnt(0)
	v_mul_f64 v[5:6], v[3:4], v[58:59]
	v_mul_f64 v[10:11], v[1:2], v[58:59]
	;; [unrolled: 1-line block ×12, first 2 shown]
	v_fma_f64 v[5:6], v[1:2], v[56:57], -v[5:6]
	v_fma_f64 v[10:11], v[3:4], v[56:57], v[10:11]
	v_fma_f64 v[92:93], v[48:49], v[56:57], -v[72:73]
	v_fma_f64 v[94:95], v[50:51], v[56:57], v[74:75]
	;; [unrolled: 2-line block ×6, first 2 shown]
	ds_load_b128 v[1:4], v12
	ds_load_b128 v[48:51], v12 offset:1248
	ds_load_b128 v[72:75], v12 offset:2496
	;; [unrolled: 1-line block ×5, first 2 shown]
	s_waitcnt lgkmcnt(0)
	s_barrier
	buffer_gl0_inv
	v_add_f64 v[64:65], v[1:2], -v[5:6]
	v_add_f64 v[66:67], v[3:4], -v[10:11]
	;; [unrolled: 1-line block ×12, first 2 shown]
	v_and_or_b32 v5, 0x1fc, v228, v7
	s_delay_alu instid0(VALU_DEP_1)
	v_lshl_add_u32 v247, v5, 4, v13
	v_fma_f64 v[52:53], v[1:2], 2.0, -v[64:65]
	v_fma_f64 v[54:55], v[3:4], 2.0, -v[66:67]
	;; [unrolled: 1-line block ×12, first 2 shown]
	v_lshlrev_b32_e32 v1, 1, v226
	v_lshlrev_b32_e32 v2, 1, v14
	;; [unrolled: 1-line block ×3, first 2 shown]
	v_and_or_b32 v4, 0xfc, v173, v7
                                        ; implicit-def: $vgpr84_vgpr85
	s_delay_alu instid0(VALU_DEP_4) | instskip(NEXT) | instid1(VALU_DEP_4)
	v_and_or_b32 v1, 0x3fc, v1, v7
	v_and_or_b32 v2, 0x3fc, v2, v7
	s_delay_alu instid0(VALU_DEP_4) | instskip(NEXT) | instid1(VALU_DEP_4)
	v_and_or_b32 v3, 0x7fc, v3, v7
	v_lshl_add_u32 v248, v4, 4, v13
	s_delay_alu instid0(VALU_DEP_4) | instskip(NEXT) | instid1(VALU_DEP_4)
	v_lshl_add_u32 v241, v1, 4, v13
	v_lshl_add_u32 v47, v2, 4, v13
	s_delay_alu instid0(VALU_DEP_4)
	v_lshl_add_u32 v46, v3, 4, v13
	ds_store_b128 v248, v[52:55]
	ds_store_b128 v248, v[64:67] offset:32
	ds_store_b128 v247, v[88:91]
	ds_store_b128 v247, v[76:79] offset:32
	;; [unrolled: 2-line block ×6, first 2 shown]
	s_waitcnt lgkmcnt(0)
	s_barrier
	buffer_gl0_inv
	s_and_saveexec_b32 s0, vcc_lo
	s_cbranch_execz .LBB0_3
; %bb.2:
	ds_load_b128 v[52:55], v12
	ds_load_b128 v[64:67], v12 offset:1152
	ds_load_b128 v[88:91], v12 offset:2304
	;; [unrolled: 1-line block ×12, first 2 shown]
.LBB0_3:
	s_or_b32 exec_lo, exec_lo, s0
	v_and_b32_e32 v44, 3, v255
	s_mov_b32 s14, 0x4267c47c
	s_mov_b32 s15, 0xbfddbe06
	;; [unrolled: 1-line block ×4, first 2 shown]
	v_mul_u32_u24_e32 v0, 12, v44
	s_mov_b32 s13, 0x3fec55a7
	s_mov_b32 s19, 0xbfea55e2
	;; [unrolled: 1-line block ×4, first 2 shown]
	v_lshlrev_b32_e32 v4, 4, v0
	s_mov_b32 s20, 0x66966769
	s_mov_b32 s21, 0xbfefc445
	;; [unrolled: 1-line block ×4, first 2 shown]
	s_clause 0x1
	global_load_b128 v[48:51], v4, s[10:11] offset:32
	global_load_b128 v[148:151], v4, s[10:11] offset:112
	s_mov_b32 s28, 0x2ef20147
	s_mov_b32 s29, 0xbfedeba7
	;; [unrolled: 1-line block ×12, first 2 shown]
	s_clause 0x3
	global_load_b128 v[152:155], v4, s[10:11] offset:128
	global_load_b128 v[96:99], v4, s[10:11] offset:176
	;; [unrolled: 1-line block ×4, first 2 shown]
	s_waitcnt vmcnt(5) lgkmcnt(11)
	v_mul_f64 v[0:1], v[66:67], v[50:51]
	s_delay_alu instid0(VALU_DEP_1) | instskip(SKIP_1) | instid1(VALU_DEP_1)
	v_fma_f64 v[2:3], v[64:65], v[48:49], -v[0:1]
	v_mul_f64 v[0:1], v[64:65], v[50:51]
	v_fma_f64 v[210:211], v[66:67], v[48:49], v[0:1]
	global_load_b128 v[64:67], v4, s[10:11] offset:208
	s_waitcnt vmcnt(0) lgkmcnt(0)
	v_mul_f64 v[0:1], v[84:85], v[66:67]
	s_delay_alu instid0(VALU_DEP_1) | instskip(SKIP_1) | instid1(VALU_DEP_2)
	v_fma_f64 v[116:117], v[86:87], v[64:65], v[0:1]
	v_mul_f64 v[0:1], v[86:87], v[66:67]
	v_add_f64 v[216:217], v[210:211], -v[116:117]
	s_delay_alu instid0(VALU_DEP_2)
	v_fma_f64 v[118:119], v[84:85], v[64:65], -v[0:1]
	global_load_b128 v[84:87], v4, s[10:11] offset:48
	v_add_f64 v[6:7], v[210:211], v[116:117]
	v_mul_f64 v[214:215], v[216:217], s[14:15]
	v_add_f64 v[212:213], v[2:3], v[118:119]
	v_add_f64 v[218:219], v[2:3], -v[118:119]
	s_waitcnt vmcnt(0)
	v_mul_f64 v[0:1], v[90:91], v[86:87]
	s_delay_alu instid0(VALU_DEP_1) | instskip(SKIP_1) | instid1(VALU_DEP_1)
	v_fma_f64 v[128:129], v[88:89], v[84:85], -v[0:1]
	v_mul_f64 v[0:1], v[88:89], v[86:87]
	v_fma_f64 v[130:131], v[90:91], v[84:85], v[0:1]
	global_load_b128 v[88:91], v4, s[10:11] offset:192
	s_waitcnt vmcnt(0)
	v_mul_f64 v[0:1], v[92:93], v[90:91]
	s_delay_alu instid0(VALU_DEP_1) | instskip(SKIP_1) | instid1(VALU_DEP_2)
	v_fma_f64 v[124:125], v[94:95], v[88:89], v[0:1]
	v_mul_f64 v[0:1], v[94:95], v[90:91]
	v_add_f64 v[174:175], v[130:131], -v[124:125]
	s_delay_alu instid0(VALU_DEP_2) | instskip(SKIP_3) | instid1(VALU_DEP_1)
	v_fma_f64 v[126:127], v[92:93], v[88:89], -v[0:1]
	global_load_b128 v[92:95], v4, s[10:11] offset:64
	v_mul_f64 v[10:11], v[174:175], s[18:19]
	v_add_f64 v[164:165], v[128:129], -v[126:127]
	v_mul_f64 v[16:17], v[164:165], s[18:19]
	s_waitcnt vmcnt(0)
	v_mul_f64 v[0:1], v[78:79], v[94:95]
	s_delay_alu instid0(VALU_DEP_1) | instskip(SKIP_1) | instid1(VALU_DEP_1)
	v_fma_f64 v[132:133], v[76:77], v[92:93], -v[0:1]
	v_mul_f64 v[0:1], v[76:77], v[94:95]
	v_fma_f64 v[134:135], v[78:79], v[92:93], v[0:1]
	v_mul_f64 v[0:1], v[102:103], v[98:99]
	s_delay_alu instid0(VALU_DEP_1) | instskip(SKIP_1) | instid1(VALU_DEP_2)
	v_fma_f64 v[76:77], v[100:101], v[96:97], -v[0:1]
	v_mul_f64 v[0:1], v[100:101], v[98:99]
	v_add_f64 v[160:161], v[132:133], v[76:77]
	s_delay_alu instid0(VALU_DEP_2) | instskip(SKIP_4) | instid1(VALU_DEP_3)
	v_fma_f64 v[78:79], v[102:103], v[96:97], v[0:1]
	global_load_b128 v[100:103], v4, s[10:11] offset:80
	v_add_f64 v[176:177], v[132:133], -v[76:77]
	v_add_f64 v[200:201], v[134:135], -v[78:79]
	v_add_f64 v[170:171], v[134:135], v[78:79]
	v_mul_f64 v[22:23], v[176:177], s[20:21]
	s_delay_alu instid0(VALU_DEP_3) | instskip(SKIP_2) | instid1(VALU_DEP_1)
	v_mul_f64 v[18:19], v[200:201], s[20:21]
	s_waitcnt vmcnt(0)
	v_mul_f64 v[0:1], v[82:83], v[102:103]
	v_fma_f64 v[136:137], v[80:81], v[100:101], -v[0:1]
	v_mul_f64 v[0:1], v[80:81], v[102:103]
	s_delay_alu instid0(VALU_DEP_1) | instskip(SKIP_1) | instid1(VALU_DEP_1)
	v_fma_f64 v[138:139], v[82:83], v[100:101], v[0:1]
	v_mul_f64 v[0:1], v[114:115], v[110:111]
	v_fma_f64 v[80:81], v[112:113], v[108:109], -v[0:1]
	v_mul_f64 v[0:1], v[112:113], v[110:111]
	s_delay_alu instid0(VALU_DEP_2) | instskip(NEXT) | instid1(VALU_DEP_2)
	v_add_f64 v[166:167], v[136:137], v[80:81]
	v_fma_f64 v[82:83], v[114:115], v[108:109], v[0:1]
	global_load_b128 v[112:115], v4, s[10:11] offset:96
	v_add_f64 v[198:199], v[136:137], -v[80:81]
	s_waitcnt vmcnt(0)
	s_barrier
	buffer_gl0_inv
	v_add_f64 v[206:207], v[138:139], -v[82:83]
	v_add_f64 v[182:183], v[138:139], v[82:83]
	v_mul_f64 v[184:185], v[198:199], s[28:29]
	s_delay_alu instid0(VALU_DEP_3) | instskip(SKIP_1) | instid1(VALU_DEP_1)
	v_mul_f64 v[20:21], v[206:207], s[28:29]
	v_mul_f64 v[0:1], v[70:71], v[114:115]
	v_fma_f64 v[140:141], v[68:69], v[112:113], -v[0:1]
	v_mul_f64 v[0:1], v[68:69], v[114:115]
	s_delay_alu instid0(VALU_DEP_1) | instskip(SKIP_1) | instid1(VALU_DEP_1)
	v_fma_f64 v[142:143], v[70:71], v[112:113], v[0:1]
	v_mul_f64 v[0:1], v[106:107], v[122:123]
	v_fma_f64 v[68:69], v[104:105], v[120:121], -v[0:1]
	v_mul_f64 v[0:1], v[104:105], v[122:123]
	s_delay_alu instid0(VALU_DEP_2) | instskip(NEXT) | instid1(VALU_DEP_2)
	v_add_f64 v[178:179], v[140:141], v[68:69]
	v_fma_f64 v[70:71], v[106:107], v[120:121], v[0:1]
	v_mul_f64 v[0:1], v[74:75], v[150:151]
	v_add_f64 v[202:203], v[140:141], -v[68:69]
	s_delay_alu instid0(VALU_DEP_3) | instskip(NEXT) | instid1(VALU_DEP_3)
	v_add_f64 v[208:209], v[142:143], -v[70:71]
	v_fma_f64 v[104:105], v[72:73], v[148:149], -v[0:1]
	v_mul_f64 v[0:1], v[72:73], v[150:151]
	v_add_f64 v[190:191], v[142:143], v[70:71]
	v_mul_f64 v[192:193], v[202:203], s[30:31]
	v_mul_f64 v[180:181], v[208:209], s[30:31]
	s_delay_alu instid0(VALU_DEP_4) | instskip(SKIP_1) | instid1(VALU_DEP_1)
	v_fma_f64 v[72:73], v[74:75], v[148:149], v[0:1]
	v_mul_f64 v[0:1], v[62:63], v[154:155]
	v_fma_f64 v[74:75], v[60:61], v[152:153], -v[0:1]
	v_mul_f64 v[0:1], v[60:61], v[154:155]
	s_delay_alu instid0(VALU_DEP_2) | instskip(NEXT) | instid1(VALU_DEP_2)
	v_add_f64 v[186:187], v[104:105], v[74:75]
	v_fma_f64 v[60:61], v[62:63], v[152:153], v[0:1]
	v_fma_f64 v[0:1], v[212:213], s[12:13], v[214:215]
	v_add_f64 v[62:63], v[128:129], v[126:127]
	v_add_f64 v[204:205], v[104:105], -v[74:75]
	s_delay_alu instid0(VALU_DEP_4) | instskip(NEXT) | instid1(VALU_DEP_4)
	v_add_f64 v[194:195], v[72:73], v[60:61]
	v_add_f64 v[0:1], v[52:53], v[0:1]
	s_delay_alu instid0(VALU_DEP_4) | instskip(NEXT) | instid1(VALU_DEP_4)
	v_fma_f64 v[4:5], v[62:63], s[0:1], v[10:11]
	v_mul_f64 v[196:197], v[204:205], s[34:35]
	s_delay_alu instid0(VALU_DEP_2) | instskip(SKIP_1) | instid1(VALU_DEP_1)
	v_add_f64 v[0:1], v[4:5], v[0:1]
	v_mul_f64 v[4:5], v[218:219], s[14:15]
	v_fma_f64 v[144:145], v[6:7], s[12:13], -v[4:5]
	s_delay_alu instid0(VALU_DEP_1) | instskip(SKIP_1) | instid1(VALU_DEP_1)
	v_add_f64 v[156:157], v[54:55], v[144:145]
	v_add_f64 v[144:145], v[130:131], v[124:125]
	v_fma_f64 v[158:159], v[144:145], s[0:1], -v[16:17]
	s_delay_alu instid0(VALU_DEP_1) | instskip(SKIP_1) | instid1(VALU_DEP_1)
	v_add_f64 v[156:157], v[158:159], v[156:157]
	v_fma_f64 v[158:159], v[160:161], s[16:17], v[18:19]
	v_add_f64 v[0:1], v[158:159], v[0:1]
	v_fma_f64 v[158:159], v[170:171], s[16:17], -v[22:23]
	s_delay_alu instid0(VALU_DEP_1) | instskip(SKIP_1) | instid1(VALU_DEP_1)
	v_add_f64 v[156:157], v[158:159], v[156:157]
	v_fma_f64 v[158:159], v[166:167], s[22:23], v[20:21]
	;; [unrolled: 5-line block ×3, first 2 shown]
	v_add_f64 v[158:159], v[158:159], v[0:1]
	v_fma_f64 v[0:1], v[190:191], s[24:25], -v[192:193]
	s_delay_alu instid0(VALU_DEP_1) | instskip(SKIP_1) | instid1(VALU_DEP_1)
	v_add_f64 v[229:230], v[0:1], v[156:157]
	v_add_f64 v[0:1], v[72:73], -v[60:61]
	v_mul_f64 v[188:189], v[0:1], s[34:35]
	s_delay_alu instid0(VALU_DEP_1) | instskip(NEXT) | instid1(VALU_DEP_1)
	v_fma_f64 v[156:157], v[186:187], s[26:27], v[188:189]
	v_add_f64 v[156:157], v[156:157], v[158:159]
	v_fma_f64 v[158:159], v[194:195], s[26:27], -v[196:197]
	s_delay_alu instid0(VALU_DEP_1)
	v_add_f64 v[158:159], v[158:159], v[229:230]
	s_and_saveexec_b32 s33, vcc_lo
	s_cbranch_execz .LBB0_5
; %bb.4:
	v_mul_f64 v[229:230], v[6:7], s[26:27]
	v_mul_f64 v[233:234], v[6:7], s[24:25]
	;; [unrolled: 1-line block ×4, first 2 shown]
	s_clause 0x1
	scratch_store_b32 off, v246, off offset:192
	scratch_store_b32 off, v247, off offset:196
	v_add_f64 v[24:25], v[54:55], v[210:211]
	scratch_store_b32 off, v248, off offset:200 ; 4-byte Folded Spill
	v_mul_f64 v[248:249], v[6:7], s[0:1]
	v_mul_f64 v[6:7], v[6:7], s[12:13]
	s_mov_b32 s37, 0x3fedeba7
	s_mov_b32 s36, s28
	;; [unrolled: 1-line block ×10, first 2 shown]
	v_mul_f64 v[252:253], v[216:217], s[28:29]
	v_mul_f64 v[220:221], v[216:217], s[20:21]
	s_clause 0x3
	scratch_store_b64 off, v[10:11], off offset:228
	scratch_store_b64 off, v[18:19], off offset:236
	;; [unrolled: 1-line block ×4, first 2 shown]
	v_add_f64 v[2:3], v[52:53], v[2:3]
	s_mov_b32 s47, 0x3fddbe06
	s_mov_b32 s46, s14
	v_mul_f64 v[28:29], v[194:195], s[16:17]
	v_mul_f64 v[32:33], v[190:191], s[16:17]
	v_mul_f64 v[36:37], v[194:195], s[12:13]
	v_mul_f64 v[40:41], v[174:175], s[34:35]
	v_dual_mov_b32 v235, v44 :: v_dual_mov_b32 v254, v241
	v_mul_f64 v[44:45], v[200:201], s[36:37]
	v_dual_mov_b32 v241, v46 :: v_dual_mov_b32 v172, v228
	v_mov_b32_e32 v228, v47
	v_fma_f64 v[231:232], v[218:219], s[38:39], v[229:230]
	v_fma_f64 v[229:230], v[218:219], s[34:35], v[229:230]
	;; [unrolled: 1-line block ×10, first 2 shown]
	v_add_f64 v[6:7], v[4:5], v[6:7]
	v_mul_f64 v[4:5], v[216:217], s[34:35]
	v_mul_f64 v[248:249], v[216:217], s[30:31]
	;; [unrolled: 1-line block ×3, first 2 shown]
	s_clause 0x1
	scratch_store_b64 off, v[24:25], off offset:204
	scratch_store_b64 off, v[20:21], off offset:220
	v_mul_f64 v[106:107], v[206:207], s[46:47]
	v_mul_f64 v[146:147], v[190:191], s[0:1]
	;; [unrolled: 1-line block ×4, first 2 shown]
	v_fma_f64 v[16:17], v[212:213], s[16:17], v[220:221]
	v_fma_f64 v[18:19], v[212:213], s[16:17], -v[220:221]
	scratch_store_b64 off, v[2:3], off offset:212 ; 8-byte Folded Spill
	v_fma_f64 v[30:31], v[204:205], s[20:21], v[28:29]
	v_fma_f64 v[28:29], v[204:205], s[44:45], v[28:29]
	;; [unrolled: 1-line block ×4, first 2 shown]
	v_fma_f64 v[42:43], v[62:63], s[26:27], -v[40:41]
	v_fma_f64 v[46:47], v[160:161], s[22:23], -v[44:45]
	v_add_f64 v[210:211], v[54:55], v[231:232]
	v_add_f64 v[2:3], v[54:55], v[246:247]
	;; [unrolled: 1-line block ×6, first 2 shown]
	v_fma_f64 v[222:223], v[212:213], s[26:27], v[4:5]
	v_fma_f64 v[224:225], v[212:213], s[26:27], -v[4:5]
	v_fma_f64 v[10:11], v[212:213], s[24:25], v[248:249]
	v_fma_f64 v[248:249], v[212:213], s[24:25], -v[248:249]
	;; [unrolled: 2-line block ×4, first 2 shown]
	v_mul_f64 v[212:213], v[212:213], s[12:13]
	v_add_f64 v[16:17], v[52:53], v[16:17]
	v_add_f64 v[18:19], v[52:53], v[18:19]
	v_add_f64 v[216:217], v[54:55], v[229:230]
	v_add_f64 v[229:230], v[54:55], v[233:234]
	v_add_f64 v[233:234], v[54:55], v[242:243]
	scratch_store_b64 off, v[24:25], off offset:276 ; 8-byte Folded Spill
	v_mul_f64 v[24:25], v[194:195], s[0:1]
	scratch_store_b64 off, v[6:7], off offset:260 ; 8-byte Folded Spill
	v_add_f64 v[10:11], v[52:53], v[10:11]
	v_add_f64 v[231:232], v[52:53], v[248:249]
	;; [unrolled: 1-line block ×5, first 2 shown]
	v_add_f64 v[212:213], v[212:213], -v[214:215]
	v_add_f64 v[214:215], v[52:53], v[222:223]
	v_add_f64 v[222:223], v[52:53], v[224:225]
	;; [unrolled: 1-line block ×6, first 2 shown]
	v_mul_f64 v[42:43], v[170:171], s[22:23]
	v_add_f64 v[6:7], v[52:53], v[212:213]
	v_mul_f64 v[212:213], v[144:145], s[12:13]
	s_delay_alu instid0(VALU_DEP_4) | instskip(SKIP_4) | instid1(VALU_DEP_2)
	v_add_f64 v[18:19], v[46:47], v[18:19]
	v_mul_f64 v[46:47], v[182:183], s[12:13]
	scratch_store_b64 off, v[6:7], off offset:268 ; 8-byte Folded Spill
	v_fma_f64 v[52:53], v[164:165], s[14:15], v[212:213]
	v_fma_f64 v[212:213], v[164:165], s[46:47], v[212:213]
	v_add_f64 v[52:53], v[52:53], v[210:211]
	v_mul_f64 v[210:211], v[174:175], s[46:47]
	s_delay_alu instid0(VALU_DEP_3) | instskip(NEXT) | instid1(VALU_DEP_2)
	v_add_f64 v[212:213], v[212:213], v[216:217]
	v_fma_f64 v[54:55], v[62:63], s[12:13], v[210:211]
	v_fma_f64 v[210:211], v[62:63], s[12:13], -v[210:211]
	s_delay_alu instid0(VALU_DEP_2) | instskip(SKIP_1) | instid1(VALU_DEP_3)
	v_add_f64 v[54:55], v[54:55], v[214:215]
	v_mul_f64 v[214:215], v[170:171], s[24:25]
	v_add_f64 v[210:211], v[210:211], v[222:223]
	v_mul_f64 v[222:223], v[170:171], s[0:1]
	s_delay_alu instid0(VALU_DEP_3) | instskip(SKIP_1) | instid1(VALU_DEP_2)
	v_fma_f64 v[242:243], v[176:177], s[40:41], v[214:215]
	v_fma_f64 v[214:215], v[176:177], s[30:31], v[214:215]
	v_add_f64 v[52:53], v[242:243], v[52:53]
	v_mul_f64 v[242:243], v[200:201], s[30:31]
	s_delay_alu instid0(VALU_DEP_3) | instskip(NEXT) | instid1(VALU_DEP_2)
	v_add_f64 v[212:213], v[214:215], v[212:213]
	v_fma_f64 v[244:245], v[160:161], s[24:25], v[242:243]
	v_fma_f64 v[214:215], v[160:161], s[24:25], -v[242:243]
	v_mul_f64 v[242:243], v[182:183], s[26:27]
	s_delay_alu instid0(VALU_DEP_3) | instskip(SKIP_1) | instid1(VALU_DEP_4)
	v_add_f64 v[54:55], v[244:245], v[54:55]
	v_mul_f64 v[244:245], v[182:183], s[0:1]
	v_add_f64 v[210:211], v[214:215], v[210:211]
	s_delay_alu instid0(VALU_DEP_2) | instskip(SKIP_2) | instid1(VALU_DEP_3)
	v_fma_f64 v[248:249], v[198:199], s[18:19], v[244:245]
	v_fma_f64 v[214:215], v[198:199], s[42:43], v[244:245]
	v_mul_f64 v[244:245], v[206:207], s[38:39]
	v_add_f64 v[52:53], v[248:249], v[52:53]
	v_mul_f64 v[248:249], v[206:207], s[42:43]
	s_delay_alu instid0(VALU_DEP_4) | instskip(NEXT) | instid1(VALU_DEP_2)
	v_add_f64 v[212:213], v[214:215], v[212:213]
	v_fma_f64 v[250:251], v[166:167], s[0:1], v[248:249]
	v_fma_f64 v[214:215], v[166:167], s[0:1], -v[248:249]
	v_mul_f64 v[248:249], v[190:191], s[12:13]
	s_delay_alu instid0(VALU_DEP_3) | instskip(SKIP_1) | instid1(VALU_DEP_4)
	v_add_f64 v[54:55], v[250:251], v[54:55]
	v_mul_f64 v[250:251], v[190:191], s[22:23]
	v_add_f64 v[210:211], v[214:215], v[210:211]
	s_delay_alu instid0(VALU_DEP_2) | instskip(SKIP_2) | instid1(VALU_DEP_3)
	v_fma_f64 v[252:253], v[202:203], s[36:37], v[250:251]
	v_fma_f64 v[214:215], v[202:203], s[28:29], v[250:251]
	v_mul_f64 v[250:251], v[208:209], s[46:47]
	v_add_f64 v[52:53], v[252:253], v[52:53]
	v_mul_f64 v[252:253], v[208:209], s[28:29]
	s_delay_alu instid0(VALU_DEP_4) | instskip(NEXT) | instid1(VALU_DEP_2)
	v_add_f64 v[212:213], v[214:215], v[212:213]
	v_fma_f64 v[220:221], v[178:179], s[22:23], v[252:253]
	v_fma_f64 v[214:215], v[178:179], s[22:23], -v[252:253]
	s_delay_alu instid0(VALU_DEP_3)
	v_add_f64 v[212:213], v[28:29], v[212:213]
	v_mul_f64 v[28:29], v[144:145], s[16:17]
	v_mul_f64 v[252:253], v[194:195], s[22:23]
	v_add_f64 v[220:221], v[220:221], v[54:55]
	v_add_f64 v[54:55], v[30:31], v[52:53]
	v_mul_f64 v[30:31], v[0:1], s[44:45]
	v_add_f64 v[210:211], v[214:215], v[210:211]
	s_delay_alu instid0(VALU_DEP_2) | instskip(SKIP_1) | instid1(VALU_DEP_2)
	v_fma_f64 v[52:53], v[186:187], s[16:17], v[30:31]
	v_fma_f64 v[30:31], v[186:187], s[16:17], -v[30:31]
	v_add_f64 v[52:53], v[52:53], v[220:221]
	v_mul_f64 v[220:221], v[174:175], s[44:45]
	s_delay_alu instid0(VALU_DEP_3) | instskip(SKIP_1) | instid1(VALU_DEP_3)
	v_add_f64 v[210:211], v[30:31], v[210:211]
	v_fma_f64 v[30:31], v[164:165], s[20:21], v[28:29]
	v_fma_f64 v[214:215], v[62:63], s[16:17], v[220:221]
	s_delay_alu instid0(VALU_DEP_2) | instskip(SKIP_1) | instid1(VALU_DEP_3)
	v_add_f64 v[30:31], v[30:31], v[224:225]
	v_mul_f64 v[224:225], v[200:201], s[18:19]
	v_add_f64 v[10:11], v[214:215], v[10:11]
	v_fma_f64 v[214:215], v[176:177], s[42:43], v[222:223]
	s_delay_alu instid0(VALU_DEP_1) | instskip(NEXT) | instid1(VALU_DEP_4)
	v_add_f64 v[30:31], v[214:215], v[30:31]
	v_fma_f64 v[214:215], v[160:161], s[0:1], v[224:225]
	s_delay_alu instid0(VALU_DEP_1) | instskip(SKIP_1) | instid1(VALU_DEP_1)
	v_add_f64 v[10:11], v[214:215], v[10:11]
	v_fma_f64 v[214:215], v[198:199], s[34:35], v[242:243]
	v_add_f64 v[30:31], v[214:215], v[30:31]
	v_fma_f64 v[214:215], v[166:167], s[26:27], v[244:245]
	s_delay_alu instid0(VALU_DEP_1) | instskip(SKIP_1) | instid1(VALU_DEP_1)
	v_add_f64 v[10:11], v[214:215], v[10:11]
	v_fma_f64 v[214:215], v[202:203], s[14:15], v[248:249]
	;; [unrolled: 5-line block ×3, first 2 shown]
	v_add_f64 v[216:217], v[214:215], v[30:31]
	v_mul_f64 v[30:31], v[0:1], s[28:29]
	s_delay_alu instid0(VALU_DEP_1) | instskip(SKIP_1) | instid1(VALU_DEP_2)
	v_fma_f64 v[214:215], v[186:187], s[22:23], v[30:31]
	v_fma_f64 v[30:31], v[186:187], s[22:23], -v[30:31]
	v_add_f64 v[214:215], v[214:215], v[10:11]
	v_fma_f64 v[10:11], v[164:165], s[44:45], v[28:29]
	v_fma_f64 v[28:29], v[62:63], s[16:17], -v[220:221]
	v_fma_f64 v[220:221], v[176:177], s[18:19], v[222:223]
	s_delay_alu instid0(VALU_DEP_3) | instskip(NEXT) | instid1(VALU_DEP_3)
	v_add_f64 v[10:11], v[10:11], v[229:230]
	v_add_f64 v[28:29], v[28:29], v[231:232]
	s_delay_alu instid0(VALU_DEP_2) | instskip(SKIP_1) | instid1(VALU_DEP_1)
	v_add_f64 v[10:11], v[220:221], v[10:11]
	v_fma_f64 v[220:221], v[160:161], s[0:1], -v[224:225]
	v_add_f64 v[28:29], v[220:221], v[28:29]
	v_fma_f64 v[220:221], v[198:199], s[38:39], v[242:243]
	s_delay_alu instid0(VALU_DEP_1) | instskip(SKIP_1) | instid1(VALU_DEP_1)
	v_add_f64 v[10:11], v[220:221], v[10:11]
	v_fma_f64 v[220:221], v[166:167], s[26:27], -v[244:245]
	v_add_f64 v[28:29], v[220:221], v[28:29]
	v_fma_f64 v[220:221], v[202:203], s[46:47], v[248:249]
	s_delay_alu instid0(VALU_DEP_1) | instskip(SKIP_1) | instid1(VALU_DEP_1)
	v_add_f64 v[10:11], v[220:221], v[10:11]
	v_fma_f64 v[220:221], v[178:179], s[12:13], -v[250:251]
	v_add_f64 v[28:29], v[220:221], v[28:29]
	v_fma_f64 v[220:221], v[204:205], s[28:29], v[252:253]
	s_delay_alu instid0(VALU_DEP_2) | instskip(NEXT) | instid1(VALU_DEP_2)
	v_add_f64 v[229:230], v[30:31], v[28:29]
	v_add_f64 v[231:232], v[220:221], v[10:11]
	v_mul_f64 v[10:11], v[144:145], s[22:23]
	s_delay_alu instid0(VALU_DEP_1) | instskip(NEXT) | instid1(VALU_DEP_1)
	v_fma_f64 v[28:29], v[164:165], s[28:29], v[10:11]
	v_add_f64 v[26:27], v[28:29], v[26:27]
	v_mul_f64 v[28:29], v[174:175], s[28:29]
	v_mul_f64 v[174:175], v[174:175], s[40:41]
	s_delay_alu instid0(VALU_DEP_2) | instskip(NEXT) | instid1(VALU_DEP_1)
	v_fma_f64 v[30:31], v[62:63], s[22:23], -v[28:29]
	v_add_f64 v[22:23], v[30:31], v[22:23]
	v_mul_f64 v[30:31], v[170:171], s[26:27]
	s_delay_alu instid0(VALU_DEP_1) | instskip(NEXT) | instid1(VALU_DEP_1)
	v_fma_f64 v[220:221], v[176:177], s[34:35], v[30:31]
	v_add_f64 v[26:27], v[220:221], v[26:27]
	v_mul_f64 v[220:221], v[200:201], s[34:35]
	v_mul_f64 v[200:201], v[200:201], s[46:47]
	s_delay_alu instid0(VALU_DEP_2) | instskip(NEXT) | instid1(VALU_DEP_1)
	v_fma_f64 v[222:223], v[160:161], s[26:27], -v[220:221]
	v_add_f64 v[22:23], v[222:223], v[22:23]
	v_mul_f64 v[222:223], v[182:183], s[24:25]
	s_delay_alu instid0(VALU_DEP_1) | instskip(NEXT) | instid1(VALU_DEP_1)
	v_fma_f64 v[224:225], v[198:199], s[40:41], v[222:223]
	v_add_f64 v[26:27], v[224:225], v[26:27]
	v_mul_f64 v[224:225], v[206:207], s[40:41]
	s_delay_alu instid0(VALU_DEP_2) | instskip(NEXT) | instid1(VALU_DEP_2)
	v_add_f64 v[26:27], v[34:35], v[26:27]
	v_fma_f64 v[242:243], v[166:167], s[24:25], -v[224:225]
	v_mul_f64 v[34:35], v[208:209], s[44:45]
	s_delay_alu instid0(VALU_DEP_3) | instskip(NEXT) | instid1(VALU_DEP_3)
	v_add_f64 v[244:245], v[38:39], v[26:27]
	v_add_f64 v[22:23], v[242:243], v[22:23]
	s_delay_alu instid0(VALU_DEP_3) | instskip(SKIP_1) | instid1(VALU_DEP_2)
	v_fma_f64 v[242:243], v[178:179], s[16:17], -v[34:35]
	v_mul_f64 v[26:27], v[0:1], s[46:47]
	v_add_f64 v[22:23], v[242:243], v[22:23]
	s_delay_alu instid0(VALU_DEP_2) | instskip(NEXT) | instid1(VALU_DEP_1)
	v_fma_f64 v[38:39], v[186:187], s[12:13], -v[26:27]
	v_add_f64 v[242:243], v[38:39], v[22:23]
	v_mul_f64 v[22:23], v[144:145], s[26:27]
	s_delay_alu instid0(VALU_DEP_1) | instskip(NEXT) | instid1(VALU_DEP_1)
	v_fma_f64 v[38:39], v[164:165], s[34:35], v[22:23]
	v_add_f64 v[38:39], v[38:39], v[246:247]
	v_fma_f64 v[246:247], v[176:177], s[36:37], v[42:43]
	s_delay_alu instid0(VALU_DEP_1) | instskip(SKIP_1) | instid1(VALU_DEP_1)
	v_add_f64 v[38:39], v[246:247], v[38:39]
	v_fma_f64 v[246:247], v[198:199], s[46:47], v[46:47]
	v_add_f64 v[38:39], v[246:247], v[38:39]
	v_fma_f64 v[246:247], v[166:167], s[12:13], -v[106:107]
	s_delay_alu instid0(VALU_DEP_1) | instskip(SKIP_1) | instid1(VALU_DEP_1)
	v_add_f64 v[18:19], v[246:247], v[18:19]
	v_fma_f64 v[246:247], v[202:203], s[18:19], v[146:147]
	v_add_f64 v[38:39], v[246:247], v[38:39]
	v_fma_f64 v[246:247], v[178:179], s[0:1], -v[162:163]
	s_delay_alu instid0(VALU_DEP_1) | instskip(SKIP_1) | instid1(VALU_DEP_1)
	v_add_f64 v[18:19], v[246:247], v[18:19]
	v_fma_f64 v[246:247], v[204:205], s[30:31], v[168:169]
	v_add_f64 v[248:249], v[246:247], v[38:39]
	v_mul_f64 v[38:39], v[0:1], s[30:31]
	v_mul_f64 v[0:1], v[0:1], s[42:43]
	s_delay_alu instid0(VALU_DEP_2) | instskip(NEXT) | instid1(VALU_DEP_1)
	v_fma_f64 v[246:247], v[186:187], s[24:25], -v[38:39]
	v_add_f64 v[246:247], v[246:247], v[18:19]
	v_mul_f64 v[18:19], v[144:145], s[24:25]
	s_delay_alu instid0(VALU_DEP_1) | instskip(NEXT) | instid1(VALU_DEP_1)
	v_fma_f64 v[250:251], v[164:165], s[40:41], v[18:19]
	v_add_f64 v[237:238], v[250:251], v[237:238]
	v_fma_f64 v[250:251], v[62:63], s[24:25], -v[174:175]
	s_delay_alu instid0(VALU_DEP_1) | instskip(SKIP_1) | instid1(VALU_DEP_1)
	v_add_f64 v[239:240], v[250:251], v[239:240]
	v_mul_f64 v[250:251], v[170:171], s[12:13]
	v_fma_f64 v[252:253], v[176:177], s[46:47], v[250:251]
	s_delay_alu instid0(VALU_DEP_1) | instskip(SKIP_1) | instid1(VALU_DEP_1)
	v_add_f64 v[237:238], v[252:253], v[237:238]
	v_fma_f64 v[252:253], v[160:161], s[12:13], -v[200:201]
	v_add_f64 v[239:240], v[252:253], v[239:240]
	v_mul_f64 v[252:253], v[182:183], s[16:17]
	s_delay_alu instid0(VALU_DEP_1) | instskip(NEXT) | instid1(VALU_DEP_1)
	v_fma_f64 v[6:7], v[198:199], s[20:21], v[252:253]
	v_add_f64 v[6:7], v[6:7], v[237:238]
	v_mul_f64 v[237:238], v[206:207], s[20:21]
	s_delay_alu instid0(VALU_DEP_1) | instskip(NEXT) | instid1(VALU_DEP_1)
	v_fma_f64 v[206:207], v[166:167], s[16:17], -v[237:238]
	v_add_f64 v[206:207], v[206:207], v[239:240]
	v_mul_f64 v[239:240], v[190:191], s[26:27]
	s_delay_alu instid0(VALU_DEP_1) | instskip(NEXT) | instid1(VALU_DEP_1)
	v_fma_f64 v[218:219], v[202:203], s[38:39], v[239:240]
	v_add_f64 v[6:7], v[218:219], v[6:7]
	v_mul_f64 v[218:219], v[208:209], s[38:39]
	s_delay_alu instid0(VALU_DEP_1) | instskip(NEXT) | instid1(VALU_DEP_1)
	v_fma_f64 v[208:209], v[178:179], s[26:27], -v[218:219]
	v_add_f64 v[206:207], v[208:209], v[206:207]
	v_fma_f64 v[208:209], v[204:205], s[42:43], v[24:25]
	s_delay_alu instid0(VALU_DEP_1) | instskip(SKIP_2) | instid1(VALU_DEP_2)
	v_add_f64 v[208:209], v[208:209], v[6:7]
	v_fma_f64 v[6:7], v[186:187], s[0:1], -v[0:1]
	v_fma_f64 v[0:1], v[186:187], s[0:1], v[0:1]
	v_add_f64 v[206:207], v[6:7], v[206:207]
	v_fma_f64 v[6:7], v[164:165], s[30:31], v[18:19]
	v_fma_f64 v[18:19], v[62:63], s[24:25], v[174:175]
	s_delay_alu instid0(VALU_DEP_2) | instskip(NEXT) | instid1(VALU_DEP_2)
	v_add_f64 v[6:7], v[6:7], v[233:234]
	v_add_f64 v[4:5], v[18:19], v[4:5]
	v_fma_f64 v[18:19], v[176:177], s[14:15], v[250:251]
	s_delay_alu instid0(VALU_DEP_1) | instskip(SKIP_1) | instid1(VALU_DEP_1)
	v_add_f64 v[6:7], v[18:19], v[6:7]
	v_fma_f64 v[18:19], v[160:161], s[12:13], v[200:201]
	v_add_f64 v[4:5], v[18:19], v[4:5]
	v_fma_f64 v[18:19], v[198:199], s[44:45], v[252:253]
	s_delay_alu instid0(VALU_DEP_1) | instskip(SKIP_1) | instid1(VALU_DEP_1)
	v_add_f64 v[6:7], v[18:19], v[6:7]
	v_fma_f64 v[18:19], v[166:167], s[16:17], v[237:238]
	;; [unrolled: 5-line block ×3, first 2 shown]
	v_add_f64 v[4:5], v[18:19], v[4:5]
	v_fma_f64 v[18:19], v[204:205], s[18:19], v[24:25]
	s_delay_alu instid0(VALU_DEP_2) | instskip(SKIP_2) | instid1(VALU_DEP_4)
	v_add_f64 v[250:251], v[0:1], v[4:5]
	v_fma_f64 v[0:1], v[164:165], s[38:39], v[22:23]
	v_fma_f64 v[4:5], v[176:177], s[28:29], v[42:43]
	v_add_f64 v[252:253], v[18:19], v[6:7]
	v_fma_f64 v[6:7], v[186:187], s[24:25], v[38:39]
	v_lshrrev_b32_e32 v18, 2, v255
	v_add_f64 v[0:1], v[0:1], v[2:3]
	v_fma_f64 v[2:3], v[62:63], s[26:27], v[40:41]
	s_delay_alu instid0(VALU_DEP_2) | instskip(NEXT) | instid1(VALU_DEP_2)
	v_add_f64 v[0:1], v[4:5], v[0:1]
	v_add_f64 v[2:3], v[2:3], v[16:17]
	v_fma_f64 v[4:5], v[160:161], s[22:23], v[44:45]
	v_mul_f64 v[16:17], v[166:167], s[22:23]
	s_delay_alu instid0(VALU_DEP_2) | instskip(SKIP_4) | instid1(VALU_DEP_4)
	v_add_f64 v[2:3], v[4:5], v[2:3]
	v_fma_f64 v[4:5], v[198:199], s[14:15], v[46:47]
	v_dual_mov_b32 v46, v241 :: v_dual_mov_b32 v241, v254
	v_dual_mov_b32 v44, v235 :: v_dual_mov_b32 v47, v228
	v_mov_b32_e32 v228, v172
	v_add_f64 v[0:1], v[4:5], v[0:1]
	v_fma_f64 v[4:5], v[166:167], s[12:13], v[106:107]
	s_delay_alu instid0(VALU_DEP_1) | instskip(SKIP_1) | instid1(VALU_DEP_1)
	v_add_f64 v[2:3], v[4:5], v[2:3]
	v_fma_f64 v[4:5], v[202:203], s[42:43], v[146:147]
	v_add_f64 v[0:1], v[4:5], v[0:1]
	v_fma_f64 v[4:5], v[178:179], s[0:1], v[162:163]
	s_delay_alu instid0(VALU_DEP_1) | instskip(SKIP_1) | instid1(VALU_DEP_2)
	v_add_f64 v[2:3], v[4:5], v[2:3]
	v_fma_f64 v[4:5], v[204:205], s[40:41], v[168:169]
	v_add_f64 v[237:238], v[6:7], v[2:3]
	s_delay_alu instid0(VALU_DEP_2)
	v_add_f64 v[239:240], v[4:5], v[0:1]
	scratch_load_b64 v[4:5], off, off offset:276 ; 8-byte Folded Reload
	v_fma_f64 v[0:1], v[164:165], s[36:37], v[10:11]
	v_fma_f64 v[2:3], v[176:177], s[38:39], v[30:31]
	;; [unrolled: 1-line block ×3, first 2 shown]
	v_lshl_add_u32 v223, v227, 5, v13
	v_lshl_add_u32 v222, v226, 5, v13
	scratch_load_b64 v[10:11], off, off offset:236 ; 8-byte Folded Reload
	s_waitcnt vmcnt(1)
	v_add_f64 v[0:1], v[0:1], v[4:5]
	v_fma_f64 v[4:5], v[62:63], s[22:23], v[28:29]
	s_delay_alu instid0(VALU_DEP_2) | instskip(NEXT) | instid1(VALU_DEP_2)
	v_add_f64 v[0:1], v[2:3], v[0:1]
	v_add_f64 v[4:5], v[4:5], v[20:21]
	v_fma_f64 v[2:3], v[160:161], s[26:27], v[220:221]
	scratch_load_b64 v[19:20], off, off offset:220 ; 8-byte Folded Reload
	v_lshl_add_u32 v221, v14, 5, v13
	v_lshl_add_u32 v220, v15, 5, v13
	v_add_f64 v[0:1], v[6:7], v[0:1]
	v_fma_f64 v[6:7], v[166:167], s[24:25], v[224:225]
	v_add_f64 v[2:3], v[2:3], v[4:5]
	v_fma_f64 v[4:5], v[202:203], s[20:21], v[32:33]
	v_lshl_add_u32 v225, v255, 5, v13
	v_lshl_add_u32 v224, v9, 5, v13
	s_delay_alu instid0(VALU_DEP_4) | instskip(NEXT) | instid1(VALU_DEP_4)
	v_add_f64 v[2:3], v[6:7], v[2:3]
	v_add_f64 v[0:1], v[4:5], v[0:1]
	v_fma_f64 v[4:5], v[178:179], s[16:17], v[34:35]
	v_fma_f64 v[6:7], v[204:205], s[14:15], v[36:37]
	s_delay_alu instid0(VALU_DEP_2) | instskip(SKIP_1) | instid1(VALU_DEP_3)
	v_add_f64 v[2:3], v[4:5], v[2:3]
	v_fma_f64 v[4:5], v[186:187], s[12:13], v[26:27]
	v_add_f64 v[176:177], v[6:7], v[0:1]
	scratch_load_b64 v[6:7], off, off offset:228 ; 8-byte Folded Reload
	v_mul_f64 v[0:1], v[170:171], s[16:17]
	v_add_f64 v[174:175], v[4:5], v[2:3]
	s_clause 0x1
	scratch_load_b64 v[2:3], off, off offset:252
	scratch_load_b64 v[4:5], off, off offset:244
	s_waitcnt vmcnt(3)
	v_add_f64 v[16:17], v[16:17], -v[19:20]
	s_waitcnt vmcnt(1)
	v_add_f64 v[0:1], v[2:3], v[0:1]
	v_mul_f64 v[2:3], v[144:145], s[0:1]
	s_waitcnt vmcnt(0)
	s_delay_alu instid0(VALU_DEP_1) | instskip(SKIP_1) | instid1(VALU_DEP_1)
	v_add_f64 v[2:3], v[4:5], v[2:3]
	v_mul_f64 v[4:5], v[62:63], s[0:1]
	v_add_f64 v[4:5], v[4:5], -v[6:7]
	v_mul_f64 v[6:7], v[160:161], s[16:17]
	s_delay_alu instid0(VALU_DEP_1)
	v_add_f64 v[6:7], v[6:7], -v[10:11]
	scratch_load_b64 v[10:11], off, off offset:260 ; 8-byte Folded Reload
	s_waitcnt vmcnt(0)
	v_add_f64 v[2:3], v[2:3], v[10:11]
	scratch_load_b64 v[10:11], off, off offset:268 ; 8-byte Folded Reload
	v_add_f64 v[0:1], v[0:1], v[2:3]
	s_waitcnt vmcnt(0)
	v_add_f64 v[4:5], v[4:5], v[10:11]
	v_mul_f64 v[10:11], v[182:183], s[22:23]
	s_delay_alu instid0(VALU_DEP_2) | instskip(NEXT) | instid1(VALU_DEP_2)
	v_add_f64 v[2:3], v[6:7], v[4:5]
	v_add_f64 v[10:11], v[184:185], v[10:11]
	v_mul_f64 v[4:5], v[190:191], s[24:25]
	v_mul_f64 v[6:7], v[178:179], s[24:25]
	s_delay_alu instid0(VALU_DEP_4) | instskip(NEXT) | instid1(VALU_DEP_4)
	v_add_f64 v[2:3], v[16:17], v[2:3]
	v_add_f64 v[0:1], v[10:11], v[0:1]
	s_delay_alu instid0(VALU_DEP_4) | instskip(NEXT) | instid1(VALU_DEP_4)
	v_add_f64 v[4:5], v[192:193], v[4:5]
	v_add_f64 v[6:7], v[6:7], -v[180:181]
	v_mul_f64 v[10:11], v[194:195], s[26:27]
	v_mul_f64 v[16:17], v[186:187], s[26:27]
	s_delay_alu instid0(VALU_DEP_4) | instskip(NEXT) | instid1(VALU_DEP_4)
	v_add_f64 v[0:1], v[4:5], v[0:1]
	v_add_f64 v[2:3], v[6:7], v[2:3]
	s_delay_alu instid0(VALU_DEP_4) | instskip(NEXT) | instid1(VALU_DEP_4)
	v_add_f64 v[10:11], v[196:197], v[10:11]
	v_add_f64 v[16:17], v[16:17], -v[188:189]
	s_delay_alu instid0(VALU_DEP_2) | instskip(NEXT) | instid1(VALU_DEP_2)
	v_add_f64 v[146:147], v[10:11], v[0:1]
	v_add_f64 v[144:145], v[16:17], v[2:3]
	s_clause 0x1
	scratch_load_b64 v[0:1], off, off offset:204
	scratch_load_b64 v[2:3], off, off offset:212
	s_waitcnt vmcnt(1)
	v_add_f64 v[0:1], v[0:1], v[130:131]
	s_waitcnt vmcnt(0)
	v_add_f64 v[2:3], v[2:3], v[128:129]
	s_delay_alu instid0(VALU_DEP_2) | instskip(NEXT) | instid1(VALU_DEP_2)
	v_add_f64 v[0:1], v[0:1], v[134:135]
	v_add_f64 v[2:3], v[2:3], v[132:133]
	s_delay_alu instid0(VALU_DEP_2) | instskip(NEXT) | instid1(VALU_DEP_2)
	v_add_f64 v[0:1], v[0:1], v[138:139]
	;; [unrolled: 3-line block ×10, first 2 shown]
	v_add_f64 v[0:1], v[4:5], v[118:119]
	v_mul_u32_u24_e32 v4, 52, v18
	s_delay_alu instid0(VALU_DEP_1) | instskip(NEXT) | instid1(VALU_DEP_1)
	v_or_b32_e32 v4, v4, v44
	v_lshl_add_u32 v4, v4, 4, v13
	ds_store_b128 v4, v[242:245] offset:128
	ds_store_b128 v4, v[246:249] offset:192
	s_clause 0x2
	scratch_load_b32 v248, off, off offset:200
	scratch_load_b32 v247, off, off offset:196
	;; [unrolled: 1-line block ×3, first 2 shown]
	ds_store_b128 v4, v[206:209] offset:256
	ds_store_b128 v4, v[229:232] offset:320
	;; [unrolled: 1-line block ×9, first 2 shown]
	ds_store_b128 v4, v[0:3]
	ds_store_b128 v4, v[156:159] offset:768
.LBB0_5:
	s_or_b32 exec_lo, exec_lo, s33
	v_add_co_u32 v0, s1, 0xffffffcc, v255
	v_cmp_gt_u16_e64 s0, 52, v255
	v_add_co_ci_u32_e64 v1, null, 0, -1, s1
	s_waitcnt vmcnt(0) lgkmcnt(0)
	s_waitcnt_vscnt null, 0x0
	s_barrier
	v_cndmask_b32_e64 v0, v0, v255, s0
	v_cndmask_b32_e64 v1, v1, 0, s0
	buffer_gl0_inv
	v_lshlrev_b32_e32 v180, 4, v173
	s_mov_b32 s12, 0xe8584caa
	s_mov_b32 s13, 0x3febb67a
	v_lshlrev_b64 v[1:2], 4, v[0:1]
	s_mov_b32 s15, 0xbfebb67a
	s_mov_b32 s14, s12
	v_lshl_add_u32 v254, v255, 4, v13
	s_delay_alu instid0(VALU_DEP_2) | instskip(NEXT) | instid1(VALU_DEP_1)
	v_add_co_u32 v1, s0, s10, v1
	v_add_co_ci_u32_e64 v2, s0, s11, v2, s0
	v_cmp_lt_u16_e64 s0, 51, v255
	global_load_b128 v[52:55], v[1:2], off offset:800
	ds_load_b128 v[1:4], v12 offset:7488
	s_waitcnt vmcnt(0) lgkmcnt(0)
	v_mul_f64 v[5:6], v[3:4], v[54:55]
	s_delay_alu instid0(VALU_DEP_1) | instskip(SKIP_1) | instid1(VALU_DEP_1)
	v_fma_f64 v[10:11], v[1:2], v[52:53], -v[5:6]
	v_mul_f64 v[1:2], v[1:2], v[54:55]
	v_fma_f64 v[16:17], v[3:4], v[52:53], v[1:2]
	v_and_b32_e32 v1, 0xff, v9
	s_delay_alu instid0(VALU_DEP_1) | instskip(NEXT) | instid1(VALU_DEP_1)
	v_mul_lo_u16 v1, 0x4f, v1
	v_lshrrev_b16 v1, 12, v1
	s_delay_alu instid0(VALU_DEP_1) | instskip(NEXT) | instid1(VALU_DEP_1)
	v_mul_lo_u16 v2, v1, 52
	v_sub_nc_u16 v2, v9, v2
	s_delay_alu instid0(VALU_DEP_1) | instskip(NEXT) | instid1(VALU_DEP_1)
	v_and_b32_e32 v36, 0xff, v2
	v_lshlrev_b32_e32 v2, 4, v36
	global_load_b128 v[60:63], v2, s[10:11] offset:800
	ds_load_b128 v[2:5], v12 offset:8736
	s_waitcnt vmcnt(0) lgkmcnt(0)
	v_mul_f64 v[6:7], v[4:5], v[62:63]
	s_delay_alu instid0(VALU_DEP_1) | instskip(SKIP_1) | instid1(VALU_DEP_1)
	v_fma_f64 v[18:19], v[2:3], v[60:61], -v[6:7]
	v_mul_f64 v[2:3], v[2:3], v[62:63]
	v_fma_f64 v[20:21], v[4:5], v[60:61], v[2:3]
	v_and_b32_e32 v2, 0xff, v227
	s_delay_alu instid0(VALU_DEP_1) | instskip(NEXT) | instid1(VALU_DEP_1)
	v_mul_lo_u16 v3, 0x4f, v2
	v_lshrrev_b16 v2, 12, v3
	s_delay_alu instid0(VALU_DEP_1) | instskip(NEXT) | instid1(VALU_DEP_1)
	v_mul_lo_u16 v4, v2, 52
	v_sub_nc_u16 v4, v227, v4
	s_delay_alu instid0(VALU_DEP_1) | instskip(NEXT) | instid1(VALU_DEP_1)
	v_and_b32_e32 v37, 0xff, v4
	v_lshlrev_b32_e32 v4, 4, v37
	global_load_b128 v[68:71], v4, s[10:11] offset:800
	ds_load_b128 v[4:7], v12 offset:9984
	s_waitcnt vmcnt(0) lgkmcnt(0)
	v_mul_f64 v[22:23], v[6:7], v[70:71]
	s_delay_alu instid0(VALU_DEP_1) | instskip(SKIP_1) | instid1(VALU_DEP_1)
	v_fma_f64 v[22:23], v[4:5], v[68:69], -v[22:23]
	v_mul_f64 v[4:5], v[4:5], v[70:71]
	v_fma_f64 v[24:25], v[6:7], v[68:69], v[4:5]
	v_and_b32_e32 v4, 0xffff, v226
	s_delay_alu instid0(VALU_DEP_1) | instskip(NEXT) | instid1(VALU_DEP_1)
	v_mul_u32_u24_e32 v140, 0x4ec5, v4
	v_lshrrev_b32_e32 v38, 20, v140
	s_delay_alu instid0(VALU_DEP_1) | instskip(NEXT) | instid1(VALU_DEP_1)
	v_mul_lo_u16 v4, v38, 52
	v_sub_nc_u16 v39, v226, v4
	s_delay_alu instid0(VALU_DEP_1) | instskip(NEXT) | instid1(VALU_DEP_1)
	v_and_b32_e32 v4, 0xffff, v39
	v_lshlrev_b32_e32 v4, 4, v4
	global_load_b128 v[72:75], v4, s[10:11] offset:800
	ds_load_b128 v[4:7], v12 offset:11232
	s_waitcnt vmcnt(0) lgkmcnt(0)
	v_mul_f64 v[26:27], v[6:7], v[74:75]
	s_delay_alu instid0(VALU_DEP_1) | instskip(SKIP_1) | instid1(VALU_DEP_1)
	v_fma_f64 v[26:27], v[4:5], v[72:73], -v[26:27]
	v_mul_f64 v[4:5], v[4:5], v[74:75]
	v_fma_f64 v[28:29], v[6:7], v[72:73], v[4:5]
	v_and_b32_e32 v4, 0xffff, v14
	s_delay_alu instid0(VALU_DEP_1) | instskip(NEXT) | instid1(VALU_DEP_1)
	v_mul_u32_u24_e32 v4, 0x4ec5, v4
	v_lshrrev_b32_e32 v40, 20, v4
	;; [unrolled: 18-line block ×3, first 2 shown]
	s_delay_alu instid0(VALU_DEP_1) | instskip(NEXT) | instid1(VALU_DEP_1)
	v_mul_lo_u16 v4, v42, 52
	v_sub_nc_u16 v43, v15, v4
	s_delay_alu instid0(VALU_DEP_1) | instskip(NEXT) | instid1(VALU_DEP_1)
	v_and_b32_e32 v4, 0xffff, v43
	v_lshlrev_b32_e32 v4, 4, v4
	global_load_b128 v[80:83], v4, s[10:11] offset:800
	ds_load_b128 v[4:7], v12 offset:13728
	s_waitcnt vmcnt(0) lgkmcnt(0)
	v_mul_f64 v[14:15], v[6:7], v[82:83]
	s_delay_alu instid0(VALU_DEP_1) | instskip(SKIP_1) | instid1(VALU_DEP_1)
	v_fma_f64 v[14:15], v[4:5], v[80:81], -v[14:15]
	v_mul_f64 v[4:5], v[4:5], v[82:83]
	v_fma_f64 v[34:35], v[6:7], v[80:81], v[4:5]
	ds_load_b128 v[4:7], v12
	ds_load_b128 v[116:119], v12 offset:1248
	ds_load_b128 v[124:127], v12 offset:2496
	;; [unrolled: 1-line block ×5, first 2 shown]
	s_waitcnt lgkmcnt(0)
	s_barrier
	buffer_gl0_inv
	v_add_f64 v[141:142], v[124:125], -v[22:23]
	v_add_f64 v[143:144], v[126:127], -v[24:25]
	;; [unrolled: 1-line block ×4, first 2 shown]
	v_cndmask_b32_e64 v10, 0, 0x68, s0
	v_add_f64 v[160:161], v[128:129], -v[26:27]
	v_add_f64 v[162:163], v[130:131], -v[28:29]
	;; [unrolled: 1-line block ×4, first 2 shown]
	v_add_nc_u32_e32 v0, v0, v10
	v_add_f64 v[168:169], v[136:137], -v[14:15]
	v_cmp_gt_u16_e64 s0, 26, v255
	s_delay_alu instid0(VALU_DEP_3) | instskip(SKIP_2) | instid1(VALU_DEP_2)
	v_lshl_add_u32 v249, v0, 4, v13
	v_and_b32_e32 v0, 0xffff, v1
	v_add_f64 v[170:171], v[138:139], -v[34:35]
	v_mul_u32_u24_e32 v0, 0x68, v0
	s_delay_alu instid0(VALU_DEP_1) | instskip(NEXT) | instid1(VALU_DEP_1)
	v_add_nc_u32_e32 v0, v0, v36
	v_lshl_add_u32 v253, v0, 4, v13
	v_and_b32_e32 v0, 0xffff, v2
	s_delay_alu instid0(VALU_DEP_1)
	v_mul_u32_u24_e32 v0, 0x68, v0
	v_fma_f64 v[124:125], v[124:125], 2.0, -v[141:142]
	v_fma_f64 v[126:127], v[126:127], 2.0, -v[143:144]
	;; [unrolled: 1-line block ×4, first 2 shown]
	ds_store_b128 v249, v[104:107] offset:832
	v_add_f64 v[104:105], v[116:117], -v[18:19]
	v_add_f64 v[106:107], v[118:119], -v[20:21]
	v_add_nc_u32_e32 v0, v0, v37
	v_fma_f64 v[128:129], v[128:129], 2.0, -v[160:161]
	v_fma_f64 v[130:131], v[130:131], 2.0, -v[162:163]
	;; [unrolled: 1-line block ×5, first 2 shown]
	v_lshl_add_u32 v252, v0, 4, v13
	v_mad_u16 v0, 0x68, v38, v39
	v_fma_f64 v[138:139], v[138:139], 2.0, -v[170:171]
	s_delay_alu instid0(VALU_DEP_2) | instskip(NEXT) | instid1(VALU_DEP_1)
	v_and_b32_e32 v0, 0xffff, v0
	v_lshl_add_u32 v45, v0, 4, v13
	v_mad_u16 v0, 0x68, v40, v41
	s_delay_alu instid0(VALU_DEP_1) | instskip(NEXT) | instid1(VALU_DEP_1)
	v_and_b32_e32 v0, 0xffff, v0
	v_lshl_add_u32 v251, v0, 4, v13
	v_mad_u16 v0, 0x68, v42, v43
	ds_store_b128 v249, v[4:7]
	v_and_b32_e32 v0, 0xffff, v0
	v_fma_f64 v[116:117], v[116:117], 2.0, -v[104:105]
	v_fma_f64 v[118:119], v[118:119], 2.0, -v[106:107]
	ds_store_b128 v253, v[104:107] offset:832
	ds_store_b128 v253, v[116:119]
	v_lshl_add_u32 v250, v0, 4, v13
	ds_store_b128 v252, v[124:127]
	ds_store_b128 v252, v[141:144] offset:832
	ds_store_b128 v45, v[128:131]
	ds_store_b128 v45, v[160:163] offset:832
	;; [unrolled: 2-line block ×4, first 2 shown]
	s_waitcnt lgkmcnt(0)
	s_barrier
	buffer_gl0_inv
	global_load_b128 v[104:107], v180, s[10:11] offset:1632
	ds_load_b128 v[116:119], v12 offset:4992
	ds_load_b128 v[136:139], v12 offset:7488
	;; [unrolled: 1-line block ×9, first 2 shown]
	s_waitcnt vmcnt(0) lgkmcnt(8)
	v_mul_f64 v[0:1], v[118:119], v[106:107]
	s_delay_alu instid0(VALU_DEP_1) | instskip(SKIP_1) | instid1(VALU_DEP_1)
	v_fma_f64 v[5:6], v[116:117], v[104:105], -v[0:1]
	v_mul_f64 v[0:1], v[116:117], v[106:107]
	v_fma_f64 v[16:17], v[118:119], v[104:105], v[0:1]
	global_load_b128 v[116:119], v180, s[10:11] offset:1648
	s_waitcnt vmcnt(0) lgkmcnt(6)
	v_mul_f64 v[0:1], v[126:127], v[118:119]
	s_delay_alu instid0(VALU_DEP_1) | instskip(SKIP_1) | instid1(VALU_DEP_1)
	v_fma_f64 v[166:167], v[124:125], v[116:117], -v[0:1]
	v_mul_f64 v[0:1], v[124:125], v[118:119]
	v_fma_f64 v[176:177], v[126:127], v[116:117], v[0:1]
	v_add_co_u32 v0, s1, 0xffffffe6, v255
	s_delay_alu instid0(VALU_DEP_1) | instskip(NEXT) | instid1(VALU_DEP_2)
	v_add_co_ci_u32_e64 v1, null, 0, -1, s1
	v_cndmask_b32_e64 v0, v0, v9, s0
	s_delay_alu instid0(VALU_DEP_2) | instskip(SKIP_2) | instid1(VALU_DEP_1)
	v_cndmask_b32_e64 v1, v1, v8, s0
	ds_load_b128 v[7:10], v12 offset:6240
	v_lshlrev_b64 v[1:2], 5, v[0:1]
	v_add_co_u32 v14, s0, s10, v1
	s_delay_alu instid0(VALU_DEP_1)
	v_add_co_ci_u32_e64 v15, s0, s11, v2, s0
	s_clause 0x1
	global_load_b128 v[124:127], v[14:15], off offset:1632
	global_load_b128 v[128:131], v[14:15], off offset:1648
	s_waitcnt vmcnt(1) lgkmcnt(0)
	v_mul_f64 v[1:2], v[9:10], v[126:127]
	s_waitcnt vmcnt(0)
	v_mul_f64 v[14:15], v[132:133], v[130:131]
	s_delay_alu instid0(VALU_DEP_2) | instskip(SKIP_1) | instid1(VALU_DEP_3)
	v_fma_f64 v[1:2], v[7:8], v[124:125], -v[1:2]
	v_mul_f64 v[7:8], v[7:8], v[126:127]
	v_fma_f64 v[168:169], v[134:135], v[128:129], v[14:15]
	v_lshrrev_b16 v15, 13, v3
	s_delay_alu instid0(VALU_DEP_1) | instskip(NEXT) | instid1(VALU_DEP_1)
	v_mul_lo_u16 v3, 0x68, v15
	v_sub_nc_u16 v3, v227, v3
	s_delay_alu instid0(VALU_DEP_1) | instskip(NEXT) | instid1(VALU_DEP_1)
	v_and_b32_e32 v181, 0xff, v3
	v_lshlrev_b32_e32 v11, 5, v181
	v_fma_f64 v[7:8], v[9:10], v[124:125], v[7:8]
	v_mul_f64 v[9:10], v[134:135], v[130:131]
	s_delay_alu instid0(VALU_DEP_1) | instskip(SKIP_4) | instid1(VALU_DEP_2)
	v_fma_f64 v[9:10], v[132:133], v[128:129], -v[9:10]
	global_load_b128 v[132:135], v11, s[10:11] offset:1632
	s_waitcnt vmcnt(0)
	v_mul_f64 v[3:4], v[138:139], v[134:135]
	v_mul_f64 v[18:19], v[136:137], v[134:135]
	v_fma_f64 v[3:4], v[136:137], v[132:133], -v[3:4]
	s_delay_alu instid0(VALU_DEP_2) | instskip(SKIP_2) | instid1(VALU_DEP_1)
	v_fma_f64 v[162:163], v[138:139], v[132:133], v[18:19]
	global_load_b128 v[136:139], v11, s[10:11] offset:1648
	v_lshrrev_b32_e32 v11, 21, v140
	v_mul_lo_u16 v11, 0x68, v11
	s_delay_alu instid0(VALU_DEP_1) | instskip(NEXT) | instid1(VALU_DEP_1)
	v_sub_nc_u16 v182, v226, v11
	v_lshlrev_b16 v11, 5, v182
	s_delay_alu instid0(VALU_DEP_1) | instskip(SKIP_2) | instid1(VALU_DEP_1)
	v_and_b32_e32 v11, 0xffff, v11
	s_waitcnt vmcnt(0)
	v_mul_f64 v[18:19], v[143:144], v[138:139]
	v_fma_f64 v[164:165], v[141:142], v[136:137], -v[18:19]
	v_mul_f64 v[18:19], v[141:142], v[138:139]
	s_delay_alu instid0(VALU_DEP_1) | instskip(SKIP_1) | instid1(VALU_DEP_1)
	v_fma_f64 v[172:173], v[143:144], v[136:137], v[18:19]
	v_add_co_u32 v18, s0, s10, v11
	v_add_co_ci_u32_e64 v19, null, s11, 0, s0
	ds_load_b128 v[144:147], v12 offset:8736
	v_cmp_lt_u16_e64 s0, 25, v255
	global_load_b128 v[140:143], v[18:19], off offset:1632
	s_waitcnt vmcnt(0) lgkmcnt(0)
	v_mul_f64 v[20:21], v[146:147], v[142:143]
	s_delay_alu instid0(VALU_DEP_1) | instskip(SKIP_1) | instid1(VALU_DEP_1)
	v_fma_f64 v[160:161], v[144:145], v[140:141], -v[20:21]
	v_mul_f64 v[20:21], v[144:145], v[142:143]
	v_fma_f64 v[170:171], v[146:147], v[140:141], v[20:21]
	global_load_b128 v[144:147], v[18:19], off offset:1648
	v_add_f64 v[20:21], v[16:17], v[176:177]
	s_waitcnt vmcnt(0)
	v_mul_f64 v[18:19], v[185:186], v[146:147]
	s_delay_alu instid0(VALU_DEP_1) | instskip(SKIP_1) | instid1(VALU_DEP_1)
	v_fma_f64 v[174:175], v[183:184], v[144:145], -v[18:19]
	v_mul_f64 v[18:19], v[183:184], v[146:147]
	v_fma_f64 v[178:179], v[185:186], v[144:145], v[18:19]
	ds_load_b128 v[183:186], v12
	v_add_f64 v[18:19], v[5:6], v[166:167]
	s_waitcnt lgkmcnt(0)
	s_barrier
	buffer_gl0_inv
	v_fma_f64 v[20:21], v[20:21], -0.5, v[185:186]
	v_add_f64 v[24:25], v[183:184], v[5:6]
	v_add_f64 v[5:6], v[5:6], -v[166:167]
	v_add_f64 v[22:23], v[185:186], v[16:17]
	v_add_f64 v[16:17], v[16:17], -v[176:177]
	v_fma_f64 v[18:19], v[18:19], -0.5, v[183:184]
	v_add_f64 v[183:184], v[24:25], v[166:167]
	v_fma_f64 v[189:190], v[5:6], s[14:15], v[20:21]
	v_fma_f64 v[193:194], v[5:6], s[12:13], v[20:21]
	v_add_f64 v[5:6], v[1:2], v[9:10]
	v_add_f64 v[20:21], v[195:196], v[1:2]
	v_add_f64 v[1:2], v[1:2], -v[9:10]
	v_add_f64 v[185:186], v[22:23], v[176:177]
	v_add_f64 v[22:23], v[7:8], -v[168:169]
	v_fma_f64 v[187:188], v[16:17], s[12:13], v[18:19]
	v_fma_f64 v[191:192], v[16:17], s[14:15], v[18:19]
	ds_store_b128 v12, v[183:186]
	ds_store_b128 v12, v[187:190] offset:1664
	ds_store_b128 v12, v[191:194] offset:3328
	v_fma_f64 v[16:17], v[5:6], -0.5, v[195:196]
	v_add_f64 v[5:6], v[7:8], v[168:169]
	s_delay_alu instid0(VALU_DEP_2) | instskip(NEXT) | instid1(VALU_DEP_2)
	v_fma_f64 v[166:167], v[22:23], s[12:13], v[16:17]
	v_fma_f64 v[18:19], v[5:6], -0.5, v[197:198]
	v_add_f64 v[5:6], v[197:198], v[7:8]
	v_fma_f64 v[195:196], v[22:23], s[14:15], v[16:17]
	v_add_f64 v[22:23], v[170:171], -v[178:179]
	s_delay_alu instid0(VALU_DEP_4) | instskip(NEXT) | instid1(VALU_DEP_4)
	v_fma_f64 v[197:198], v[1:2], s[12:13], v[18:19]
	v_add_f64 v[7:8], v[5:6], v[168:169]
	v_fma_f64 v[168:169], v[1:2], s[14:15], v[18:19]
	v_add_f64 v[1:2], v[3:4], v[164:165]
	v_add_f64 v[5:6], v[20:21], v[9:10]
	;; [unrolled: 1-line block ×3, first 2 shown]
	v_add_f64 v[20:21], v[162:163], -v[172:173]
	s_delay_alu instid0(VALU_DEP_4) | instskip(SKIP_1) | instid1(VALU_DEP_4)
	v_fma_f64 v[9:10], v[1:2], -0.5, v[199:200]
	v_add_f64 v[1:2], v[162:163], v[172:173]
	v_add_f64 v[199:200], v[18:19], v[164:165]
	v_add_f64 v[18:19], v[3:4], -v[164:165]
	s_delay_alu instid0(VALU_DEP_3) | instskip(SKIP_2) | instid1(VALU_DEP_3)
	v_fma_f64 v[16:17], v[1:2], -0.5, v[201:202]
	v_add_f64 v[1:2], v[201:202], v[162:163]
	v_fma_f64 v[162:163], v[20:21], s[14:15], v[9:10]
	v_fma_f64 v[3:4], v[18:19], s[14:15], v[16:17]
	s_delay_alu instid0(VALU_DEP_3)
	v_add_f64 v[201:202], v[1:2], v[172:173]
	v_fma_f64 v[1:2], v[20:21], s[12:13], v[9:10]
	v_fma_f64 v[164:165], v[18:19], s[12:13], v[16:17]
	v_add_f64 v[9:10], v[160:161], v[174:175]
	v_add_f64 v[16:17], v[170:171], v[178:179]
	v_add_f64 v[18:19], v[205:206], v[170:171]
	v_add_f64 v[20:21], v[203:204], v[160:161]
	s_delay_alu instid0(VALU_DEP_4) | instskip(NEXT) | instid1(VALU_DEP_4)
	v_fma_f64 v[9:10], v[9:10], -0.5, v[203:204]
	v_fma_f64 v[16:17], v[16:17], -0.5, v[205:206]
	s_delay_alu instid0(VALU_DEP_4)
	v_add_f64 v[172:173], v[18:19], v[178:179]
	v_add_f64 v[18:19], v[160:161], -v[174:175]
	v_add_f64 v[170:171], v[20:21], v[174:175]
	v_fma_f64 v[203:204], v[22:23], s[14:15], v[9:10]
	v_fma_f64 v[174:175], v[22:23], s[12:13], v[9:10]
	v_cndmask_b32_e64 v9, 0, 0x138, s0
	v_fma_f64 v[205:206], v[18:19], s[12:13], v[16:17]
	v_fma_f64 v[176:177], v[18:19], s[14:15], v[16:17]
	s_delay_alu instid0(VALU_DEP_3) | instskip(NEXT) | instid1(VALU_DEP_1)
	v_add_nc_u32_e32 v0, v0, v9
	v_lshl_add_u32 v14, v0, 4, v13
	v_and_b32_e32 v0, 0xffff, v15
	ds_store_b128 v14, v[5:8]
	ds_store_b128 v14, v[166:169] offset:1664
	ds_store_b128 v14, v[195:198] offset:3328
	v_mul_u32_u24_e32 v0, 0x138, v0
	v_add_co_u32 v8, s0, s10, v180
	s_delay_alu instid0(VALU_DEP_1) | instskip(NEXT) | instid1(VALU_DEP_3)
	v_add_co_ci_u32_e64 v9, null, s11, 0, s0
	v_add_nc_u32_e32 v0, v0, v181
	s_delay_alu instid0(VALU_DEP_1)
	v_lshl_add_u32 v15, v0, 4, v13
	v_and_b32_e32 v0, 0xffff, v182
	ds_store_b128 v15, v[199:202]
	ds_store_b128 v15, v[1:4] offset:1664
	ds_store_b128 v15, v[162:165] offset:3328
	v_lshl_add_u32 v0, v0, 4, v13
	ds_store_b128 v0, v[170:173] offset:9984
	ds_store_b128 v0, v[174:177] offset:11648
	scratch_store_b32 off, v0, off offset:192 ; 4-byte Folded Spill
	ds_store_b128 v0, v[203:206] offset:13312
	v_add_co_u32 v0, s0, 0x1000, v8
	s_delay_alu instid0(VALU_DEP_1)
	v_add_co_ci_u32_e64 v1, s0, 0, v9, s0
	s_waitcnt lgkmcnt(0)
	s_waitcnt_vscnt null, 0x0
	s_barrier
	buffer_gl0_inv
	global_load_b128 v[160:163], v[0:1], off offset:864
	ds_load_b128 v[0:3], v12 offset:4992
	ds_load_b128 v[208:211], v12 offset:2496
	;; [unrolled: 1-line block ×3, first 2 shown]
	s_waitcnt vmcnt(0) lgkmcnt(2)
	v_mul_f64 v[4:5], v[2:3], v[162:163]
	s_delay_alu instid0(VALU_DEP_1) | instskip(SKIP_1) | instid1(VALU_DEP_1)
	v_fma_f64 v[4:5], v[0:1], v[160:161], -v[4:5]
	v_mul_f64 v[0:1], v[0:1], v[162:163]
	v_fma_f64 v[6:7], v[2:3], v[160:161], v[0:1]
	v_add_co_u32 v0, s0, 0x1360, v8
	s_delay_alu instid0(VALU_DEP_1) | instskip(SKIP_4) | instid1(VALU_DEP_1)
	v_add_co_ci_u32_e64 v1, s0, 0, v9, s0
	global_load_b128 v[164:167], v[0:1], off offset:16
	ds_load_b128 v[0:3], v12 offset:9984
	s_waitcnt vmcnt(0) lgkmcnt(0)
	v_mul_f64 v[8:9], v[2:3], v[166:167]
	v_fma_f64 v[8:9], v[0:1], v[164:165], -v[8:9]
	v_mul_f64 v[0:1], v[0:1], v[166:167]
	s_delay_alu instid0(VALU_DEP_2) | instskip(NEXT) | instid1(VALU_DEP_2)
	v_add_f64 v[40:41], v[4:5], v[8:9]
	v_fma_f64 v[10:11], v[2:3], v[164:165], v[0:1]
	v_lshlrev_b32_e32 v0, 4, v228
	s_delay_alu instid0(VALU_DEP_1) | instskip(NEXT) | instid1(VALU_DEP_1)
	v_add_co_u32 v20, s0, s10, v0
	v_add_co_ci_u32_e64 v21, null, s11, 0, s0
	s_delay_alu instid0(VALU_DEP_2) | instskip(NEXT) | instid1(VALU_DEP_1)
	v_add_co_u32 v0, s0, 0x1000, v20
	v_add_co_ci_u32_e64 v1, s0, 0, v21, s0
	global_load_b128 v[168:171], v[0:1], off offset:864
	ds_load_b128 v[0:3], v12 offset:6240
	v_add_f64 v[42:43], v[6:7], v[10:11]
	s_waitcnt vmcnt(0) lgkmcnt(0)
	v_mul_f64 v[16:17], v[2:3], v[170:171]
	s_delay_alu instid0(VALU_DEP_1) | instskip(SKIP_1) | instid1(VALU_DEP_1)
	v_fma_f64 v[16:17], v[0:1], v[168:169], -v[16:17]
	v_mul_f64 v[0:1], v[0:1], v[170:171]
	v_fma_f64 v[18:19], v[2:3], v[168:169], v[0:1]
	v_add_co_u32 v0, s0, 0x1360, v20
	s_delay_alu instid0(VALU_DEP_1) | instskip(SKIP_4) | instid1(VALU_DEP_1)
	v_add_co_ci_u32_e64 v1, s0, 0, v21, s0
	global_load_b128 v[172:175], v[0:1], off offset:16
	ds_load_b128 v[0:3], v12 offset:11232
	s_waitcnt vmcnt(0) lgkmcnt(0)
	v_mul_f64 v[20:21], v[2:3], v[174:175]
	v_fma_f64 v[20:21], v[0:1], v[172:173], -v[20:21]
	v_mul_f64 v[0:1], v[0:1], v[174:175]
	s_delay_alu instid0(VALU_DEP_1) | instskip(SKIP_1) | instid1(VALU_DEP_1)
	v_fma_f64 v[22:23], v[2:3], v[172:173], v[0:1]
	v_lshlrev_b32_e32 v0, 5, v227
	v_add_co_u32 v28, s0, s10, v0
	s_delay_alu instid0(VALU_DEP_1) | instskip(NEXT) | instid1(VALU_DEP_2)
	v_add_co_ci_u32_e64 v29, null, s11, 0, s0
	v_add_co_u32 v0, s0, 0x1000, v28
	s_delay_alu instid0(VALU_DEP_1) | instskip(SKIP_4) | instid1(VALU_DEP_1)
	v_add_co_ci_u32_e64 v1, s0, 0, v29, s0
	global_load_b128 v[176:179], v[0:1], off offset:864
	ds_load_b128 v[0:3], v12 offset:7488
	s_waitcnt vmcnt(0) lgkmcnt(0)
	v_mul_f64 v[24:25], v[2:3], v[178:179]
	v_fma_f64 v[24:25], v[0:1], v[176:177], -v[24:25]
	v_mul_f64 v[0:1], v[0:1], v[178:179]
	s_delay_alu instid0(VALU_DEP_1) | instskip(SKIP_1) | instid1(VALU_DEP_1)
	v_fma_f64 v[26:27], v[2:3], v[176:177], v[0:1]
	v_add_co_u32 v0, s0, 0x1360, v28
	v_add_co_ci_u32_e64 v1, s0, 0, v29, s0
	global_load_b128 v[180:183], v[0:1], off offset:16
	ds_load_b128 v[0:3], v12 offset:12480
	s_waitcnt vmcnt(0) lgkmcnt(0)
	v_mul_f64 v[28:29], v[2:3], v[182:183]
	s_delay_alu instid0(VALU_DEP_1) | instskip(SKIP_1) | instid1(VALU_DEP_1)
	v_fma_f64 v[28:29], v[0:1], v[180:181], -v[28:29]
	v_mul_f64 v[0:1], v[0:1], v[182:183]
	v_fma_f64 v[30:31], v[2:3], v[180:181], v[0:1]
	v_lshlrev_b32_e32 v0, 5, v226
	ds_load_b128 v[226:229], v12 offset:3744
	v_add_co_u32 v36, s0, s10, v0
	s_delay_alu instid0(VALU_DEP_1) | instskip(NEXT) | instid1(VALU_DEP_2)
	v_add_co_ci_u32_e64 v37, null, s11, 0, s0
	v_add_co_u32 v0, s0, 0x1000, v36
	s_delay_alu instid0(VALU_DEP_1) | instskip(SKIP_4) | instid1(VALU_DEP_1)
	v_add_co_ci_u32_e64 v1, s0, 0, v37, s0
	global_load_b128 v[184:187], v[0:1], off offset:864
	ds_load_b128 v[0:3], v12 offset:8736
	s_waitcnt vmcnt(0) lgkmcnt(0)
	v_mul_f64 v[32:33], v[2:3], v[186:187]
	v_fma_f64 v[32:33], v[0:1], v[184:185], -v[32:33]
	v_mul_f64 v[0:1], v[0:1], v[186:187]
	s_delay_alu instid0(VALU_DEP_1) | instskip(SKIP_1) | instid1(VALU_DEP_1)
	v_fma_f64 v[34:35], v[2:3], v[184:185], v[0:1]
	v_add_co_u32 v0, s0, 0x1360, v36
	v_add_co_ci_u32_e64 v1, s0, 0, v37, s0
	global_load_b128 v[188:191], v[0:1], off offset:16
	ds_load_b128 v[0:3], v12 offset:13728
	s_waitcnt vmcnt(0) lgkmcnt(0)
	v_mul_f64 v[36:37], v[2:3], v[190:191]
	s_delay_alu instid0(VALU_DEP_1) | instskip(SKIP_1) | instid1(VALU_DEP_1)
	v_fma_f64 v[36:37], v[0:1], v[188:189], -v[36:37]
	v_mul_f64 v[0:1], v[0:1], v[190:191]
	v_fma_f64 v[38:39], v[2:3], v[188:189], v[0:1]
	ds_load_b128 v[0:3], v12
	s_waitcnt lgkmcnt(0)
	v_fma_f64 v[40:41], v[40:41], -0.5, v[0:1]
	v_add_f64 v[0:1], v[0:1], v[4:5]
	v_fma_f64 v[42:43], v[42:43], -0.5, v[2:3]
	v_add_f64 v[2:3], v[2:3], v[6:7]
	v_add_f64 v[6:7], v[6:7], -v[10:11]
	s_delay_alu instid0(VALU_DEP_4) | instskip(SKIP_1) | instid1(VALU_DEP_4)
	v_add_f64 v[0:1], v[0:1], v[8:9]
	v_add_f64 v[8:9], v[4:5], -v[8:9]
	v_add_f64 v[2:3], v[2:3], v[10:11]
	s_delay_alu instid0(VALU_DEP_4)
	v_fma_f64 v[4:5], v[6:7], s[12:13], v[40:41]
	v_fma_f64 v[192:193], v[6:7], s[14:15], v[40:41]
	v_add_f64 v[10:11], v[18:19], v[22:23]
	v_add_f64 v[40:41], v[198:199], v[18:19]
	v_add_f64 v[18:19], v[18:19], -v[22:23]
	v_fma_f64 v[6:7], v[8:9], s[14:15], v[42:43]
	v_fma_f64 v[194:195], v[8:9], s[12:13], v[42:43]
	v_add_f64 v[8:9], v[16:17], v[20:21]
	v_add_f64 v[42:43], v[196:197], v[16:17]
	v_fma_f64 v[10:11], v[10:11], -0.5, v[198:199]
	v_add_f64 v[16:17], v[16:17], -v[20:21]
	v_add_f64 v[198:199], v[40:41], v[22:23]
	ds_store_b128 v12, v[0:3]
	ds_store_b128 v12, v[4:7] offset:4992
	v_lshlrev_b32_e32 v0, 4, v255
	v_fma_f64 v[8:9], v[8:9], -0.5, v[196:197]
	v_add_f64 v[196:197], v[42:43], v[20:21]
	v_add_f64 v[20:21], v[26:27], -v[30:31]
	v_fma_f64 v[202:203], v[16:17], s[14:15], v[10:11]
	v_fma_f64 v[206:207], v[16:17], s[12:13], v[10:11]
	v_add_f64 v[10:11], v[26:27], v[30:31]
	v_add_f64 v[16:17], v[210:211], v[26:27]
	v_fma_f64 v[200:201], v[18:19], s[12:13], v[8:9]
	v_fma_f64 v[204:205], v[18:19], s[14:15], v[8:9]
	v_add_f64 v[8:9], v[24:25], v[28:29]
	v_add_f64 v[18:19], v[208:209], v[24:25]
	v_fma_f64 v[10:11], v[10:11], -0.5, v[210:211]
	v_add_f64 v[210:211], v[16:17], v[30:31]
	v_add_f64 v[16:17], v[24:25], -v[28:29]
	v_fma_f64 v[8:9], v[8:9], -0.5, v[208:209]
	v_add_f64 v[208:209], v[18:19], v[28:29]
	v_add_f64 v[18:19], v[226:227], v[32:33]
	s_delay_alu instid0(VALU_DEP_4)
	v_fma_f64 v[214:215], v[16:17], s[14:15], v[10:11]
	v_fma_f64 v[218:219], v[16:17], s[12:13], v[10:11]
	v_add_f64 v[10:11], v[34:35], v[38:39]
	v_add_f64 v[16:17], v[228:229], v[34:35]
	v_fma_f64 v[212:213], v[20:21], s[12:13], v[8:9]
	v_fma_f64 v[216:217], v[20:21], s[14:15], v[8:9]
	v_add_f64 v[8:9], v[32:33], v[36:37]
	v_add_f64 v[20:21], v[34:35], -v[38:39]
	v_fma_f64 v[10:11], v[10:11], -0.5, v[228:229]
	v_add_f64 v[228:229], v[16:17], v[38:39]
	v_add_f64 v[16:17], v[32:33], -v[36:37]
	v_fma_f64 v[8:9], v[8:9], -0.5, v[226:227]
	v_add_f64 v[226:227], v[18:19], v[36:37]
	s_delay_alu instid0(VALU_DEP_3) | instskip(SKIP_1) | instid1(VALU_DEP_4)
	v_fma_f64 v[232:233], v[16:17], s[14:15], v[10:11]
	v_fma_f64 v[239:240], v[16:17], s[12:13], v[10:11]
	;; [unrolled: 1-line block ×4, first 2 shown]
	v_add_co_u32 v20, s0, s8, v0
	s_delay_alu instid0(VALU_DEP_1)
	v_add_co_ci_u32_e64 v21, null, s9, 0, s0
	ds_store_b128 v254, v[192:195] offset:9984
	ds_store_b128 v12, v[196:199] offset:1248
	;; [unrolled: 1-line block ×10, first 2 shown]
	v_add_co_u32 v0, s0, 0x3000, v20
	s_delay_alu instid0(VALU_DEP_1)
	v_add_co_ci_u32_e64 v1, s0, 0, v21, s0
	s_waitcnt lgkmcnt(0)
	s_barrier
	buffer_gl0_inv
	global_load_b128 v[0:3], v[0:1], off offset:2688
	ds_load_b128 v[4:7], v12
	ds_load_b128 v[196:199], v12 offset:1248
	ds_load_b128 v[192:195], v12 offset:7488
	ds_load_b128 v[200:203], v12 offset:8736
	ds_load_b128 v[204:207], v12 offset:2496
	ds_load_b128 v[212:215], v12 offset:3744
	ds_load_b128 v[208:211], v12 offset:9984
	ds_load_b128 v[216:219], v12 offset:11232
	ds_load_b128 v[226:229], v12 offset:4992
	ds_load_b128 v[237:240], v12 offset:6240
	ds_load_b128 v[230:233], v12 offset:12480
	ds_load_b128 v[242:245], v12 offset:13728
	s_waitcnt vmcnt(0) lgkmcnt(11)
	v_mul_f64 v[8:9], v[6:7], v[2:3]
	v_mul_f64 v[10:11], v[4:5], v[2:3]
	s_delay_alu instid0(VALU_DEP_2) | instskip(NEXT) | instid1(VALU_DEP_2)
	v_fma_f64 v[2:3], v[4:5], v[0:1], -v[8:9]
	v_fma_f64 v[4:5], v[6:7], v[0:1], v[10:11]
	v_add_co_u32 v0, s0, 0x5000, v20
	s_delay_alu instid0(VALU_DEP_1) | instskip(SKIP_4) | instid1(VALU_DEP_2)
	v_add_co_ci_u32_e64 v1, s0, 0, v21, s0
	global_load_b128 v[6:9], v[0:1], off offset:1984
	s_waitcnt vmcnt(0) lgkmcnt(9)
	v_mul_f64 v[10:11], v[194:195], v[8:9]
	v_mul_f64 v[8:9], v[192:193], v[8:9]
	v_fma_f64 v[192:193], v[192:193], v[6:7], -v[10:11]
	v_add_co_u32 v10, s0, 0x3a80, v20
	s_delay_alu instid0(VALU_DEP_1) | instskip(NEXT) | instid1(VALU_DEP_4)
	v_add_co_ci_u32_e64 v11, s0, 0, v21, s0
	v_fma_f64 v[194:195], v[194:195], v[6:7], v[8:9]
	global_load_b128 v[6:9], v[10:11], off offset:1248
	s_waitcnt vmcnt(0)
	v_mul_f64 v[16:17], v[198:199], v[8:9]
	v_mul_f64 v[8:9], v[196:197], v[8:9]
	s_delay_alu instid0(VALU_DEP_2) | instskip(NEXT) | instid1(VALU_DEP_2)
	v_fma_f64 v[196:197], v[196:197], v[6:7], -v[16:17]
	v_fma_f64 v[198:199], v[198:199], v[6:7], v[8:9]
	global_load_b128 v[6:9], v[0:1], off offset:3232
	s_waitcnt vmcnt(0) lgkmcnt(8)
	v_mul_f64 v[16:17], v[202:203], v[8:9]
	v_mul_f64 v[8:9], v[200:201], v[8:9]
	s_delay_alu instid0(VALU_DEP_2) | instskip(NEXT) | instid1(VALU_DEP_2)
	v_fma_f64 v[200:201], v[200:201], v[6:7], -v[16:17]
	v_fma_f64 v[202:203], v[202:203], v[6:7], v[8:9]
	global_load_b128 v[6:9], v[10:11], off offset:2496
	s_waitcnt vmcnt(0) lgkmcnt(7)
	v_mul_f64 v[16:17], v[206:207], v[8:9]
	v_mul_f64 v[8:9], v[204:205], v[8:9]
	s_delay_alu instid0(VALU_DEP_2) | instskip(SKIP_1) | instid1(VALU_DEP_1)
	v_fma_f64 v[204:205], v[204:205], v[6:7], -v[16:17]
	v_add_co_u32 v16, s0, 0x6000, v20
	v_add_co_ci_u32_e64 v17, s0, 0, v21, s0
	s_delay_alu instid0(VALU_DEP_4) | instskip(SKIP_4) | instid1(VALU_DEP_2)
	v_fma_f64 v[206:207], v[206:207], v[6:7], v[8:9]
	global_load_b128 v[6:9], v[16:17], off offset:384
	s_waitcnt vmcnt(0) lgkmcnt(5)
	v_mul_f64 v[18:19], v[210:211], v[8:9]
	v_mul_f64 v[8:9], v[208:209], v[8:9]
	v_fma_f64 v[208:209], v[208:209], v[6:7], -v[18:19]
	s_delay_alu instid0(VALU_DEP_2) | instskip(SKIP_4) | instid1(VALU_DEP_2)
	v_fma_f64 v[210:211], v[210:211], v[6:7], v[8:9]
	global_load_b128 v[6:9], v[10:11], off offset:3744
	s_waitcnt vmcnt(0)
	v_mul_f64 v[10:11], v[214:215], v[8:9]
	v_mul_f64 v[8:9], v[212:213], v[8:9]
	v_fma_f64 v[212:213], v[212:213], v[6:7], -v[10:11]
	s_delay_alu instid0(VALU_DEP_2) | instskip(SKIP_4) | instid1(VALU_DEP_2)
	v_fma_f64 v[214:215], v[214:215], v[6:7], v[8:9]
	global_load_b128 v[6:9], v[16:17], off offset:1632
	s_waitcnt vmcnt(0) lgkmcnt(4)
	v_mul_f64 v[10:11], v[218:219], v[8:9]
	v_mul_f64 v[8:9], v[216:217], v[8:9]
	v_fma_f64 v[216:217], v[216:217], v[6:7], -v[10:11]
	s_delay_alu instid0(VALU_DEP_2) | instskip(SKIP_1) | instid1(VALU_DEP_1)
	v_fma_f64 v[218:219], v[218:219], v[6:7], v[8:9]
	v_add_co_u32 v6, s0, 0x4000, v20
	v_add_co_ci_u32_e64 v7, s0, 0, v21, s0
	global_load_b128 v[6:9], v[6:7], off offset:3584
	s_waitcnt vmcnt(0) lgkmcnt(3)
	v_mul_f64 v[10:11], v[228:229], v[8:9]
	v_mul_f64 v[8:9], v[226:227], v[8:9]
	s_delay_alu instid0(VALU_DEP_2) | instskip(NEXT) | instid1(VALU_DEP_2)
	v_fma_f64 v[226:227], v[226:227], v[6:7], -v[10:11]
	v_fma_f64 v[228:229], v[228:229], v[6:7], v[8:9]
	global_load_b128 v[6:9], v[16:17], off offset:2880
	s_waitcnt vmcnt(0) lgkmcnt(1)
	v_mul_f64 v[10:11], v[232:233], v[8:9]
	v_mul_f64 v[8:9], v[230:231], v[8:9]
	s_delay_alu instid0(VALU_DEP_2) | instskip(NEXT) | instid1(VALU_DEP_2)
	v_fma_f64 v[230:231], v[230:231], v[6:7], -v[10:11]
	v_fma_f64 v[232:233], v[232:233], v[6:7], v[8:9]
	global_load_b128 v[6:9], v[0:1], off offset:736
	s_waitcnt vmcnt(0)
	v_mul_f64 v[0:1], v[239:240], v[8:9]
	v_mul_f64 v[8:9], v[237:238], v[8:9]
	s_delay_alu instid0(VALU_DEP_2) | instskip(SKIP_1) | instid1(VALU_DEP_1)
	v_fma_f64 v[237:238], v[237:238], v[6:7], -v[0:1]
	v_add_co_u32 v0, s0, 0x7000, v20
	v_add_co_ci_u32_e64 v1, s0, 0, v21, s0
	s_delay_alu instid0(VALU_DEP_4) | instskip(SKIP_4) | instid1(VALU_DEP_2)
	v_fma_f64 v[239:240], v[239:240], v[6:7], v[8:9]
	global_load_b128 v[6:9], v[0:1], off offset:32
	s_waitcnt vmcnt(0) lgkmcnt(0)
	v_mul_f64 v[0:1], v[244:245], v[8:9]
	v_mul_f64 v[8:9], v[242:243], v[8:9]
	v_fma_f64 v[242:243], v[242:243], v[6:7], -v[0:1]
	s_delay_alu instid0(VALU_DEP_2)
	v_fma_f64 v[244:245], v[244:245], v[6:7], v[8:9]
	ds_store_b128 v12, v[2:5]
	ds_store_b128 v12, v[196:199] offset:1248
	ds_store_b128 v12, v[192:195] offset:7488
	;; [unrolled: 1-line block ×11, first 2 shown]
	s_waitcnt lgkmcnt(0)
	s_barrier
	buffer_gl0_inv
	ds_load_b128 v[0:3], v12 offset:7488
	ds_load_b128 v[4:7], v12
	ds_load_b128 v[192:195], v12 offset:1248
	ds_load_b128 v[196:199], v12 offset:8736
	;; [unrolled: 1-line block ×10, first 2 shown]
	s_waitcnt lgkmcnt(0)
	s_barrier
	buffer_gl0_inv
	v_add_f64 v[0:1], v[4:5], -v[0:1]
	v_add_f64 v[2:3], v[6:7], -v[2:3]
	s_delay_alu instid0(VALU_DEP_2) | instskip(NEXT) | instid1(VALU_DEP_2)
	v_fma_f64 v[4:5], v[4:5], 2.0, -v[0:1]
	v_fma_f64 v[6:7], v[6:7], 2.0, -v[2:3]
	ds_store_b128 v225, v[0:3] offset:16
	ds_store_b128 v225, v[4:7]
	v_add_f64 v[0:1], v[192:193], -v[196:197]
	v_add_f64 v[2:3], v[194:195], -v[198:199]
	s_delay_alu instid0(VALU_DEP_2) | instskip(NEXT) | instid1(VALU_DEP_2)
	v_fma_f64 v[4:5], v[192:193], 2.0, -v[0:1]
	v_fma_f64 v[6:7], v[194:195], 2.0, -v[2:3]
	ds_store_b128 v224, v[4:7]
	ds_store_b128 v224, v[0:3] offset:16
	v_add_f64 v[0:1], v[204:205], -v[200:201]
	v_add_f64 v[2:3], v[206:207], -v[202:203]
	s_delay_alu instid0(VALU_DEP_2) | instskip(NEXT) | instid1(VALU_DEP_2)
	v_fma_f64 v[4:5], v[204:205], 2.0, -v[0:1]
	v_fma_f64 v[6:7], v[206:207], 2.0, -v[2:3]
	ds_store_b128 v223, v[4:7]
	ds_store_b128 v223, v[0:3] offset:16
	;; [unrolled: 7-line block ×5, first 2 shown]
	s_waitcnt lgkmcnt(0)
	s_barrier
	buffer_gl0_inv
	ds_load_b128 v[0:3], v12 offset:7488
	s_waitcnt lgkmcnt(0)
	v_mul_f64 v[4:5], v[58:59], v[2:3]
	s_delay_alu instid0(VALU_DEP_1) | instskip(SKIP_1) | instid1(VALU_DEP_1)
	v_fma_f64 v[4:5], v[56:57], v[0:1], v[4:5]
	v_mul_f64 v[0:1], v[58:59], v[0:1]
	v_fma_f64 v[6:7], v[56:57], v[2:3], -v[0:1]
	ds_load_b128 v[0:3], v12 offset:8736
	s_waitcnt lgkmcnt(0)
	v_mul_f64 v[8:9], v[58:59], v[2:3]
	s_delay_alu instid0(VALU_DEP_1) | instskip(SKIP_1) | instid1(VALU_DEP_1)
	v_fma_f64 v[8:9], v[56:57], v[0:1], v[8:9]
	v_mul_f64 v[0:1], v[58:59], v[0:1]
	v_fma_f64 v[10:11], v[56:57], v[2:3], -v[0:1]
	;; [unrolled: 7-line block ×6, first 2 shown]
	ds_load_b128 v[0:3], v12
	s_waitcnt lgkmcnt(0)
	v_add_f64 v[192:193], v[0:1], -v[4:5]
	v_add_f64 v[194:195], v[2:3], -v[6:7]
	s_delay_alu instid0(VALU_DEP_2) | instskip(NEXT) | instid1(VALU_DEP_2)
	v_fma_f64 v[56:57], v[0:1], 2.0, -v[192:193]
	v_fma_f64 v[58:59], v[2:3], 2.0, -v[194:195]
	ds_load_b128 v[0:3], v12 offset:1248
	s_waitcnt lgkmcnt(0)
	v_add_f64 v[200:201], v[0:1], -v[8:9]
	v_add_f64 v[202:203], v[2:3], -v[10:11]
	s_delay_alu instid0(VALU_DEP_2) | instskip(NEXT) | instid1(VALU_DEP_2)
	v_fma_f64 v[196:197], v[0:1], 2.0, -v[200:201]
	v_fma_f64 v[198:199], v[2:3], 2.0, -v[202:203]
	ds_load_b128 v[0:3], v12 offset:2496
	;; [unrolled: 7-line block ×5, first 2 shown]
	s_waitcnt lgkmcnt(0)
	s_barrier
	buffer_gl0_inv
	v_add_f64 v[212:213], v[0:1], -v[28:29]
	v_add_f64 v[214:215], v[2:3], -v[30:31]
	s_delay_alu instid0(VALU_DEP_2) | instskip(NEXT) | instid1(VALU_DEP_2)
	v_fma_f64 v[220:221], v[0:1], 2.0, -v[212:213]
	v_fma_f64 v[222:223], v[2:3], 2.0, -v[214:215]
	ds_store_b128 v248, v[192:195] offset:32
	ds_store_b128 v248, v[56:59]
	ds_store_b128 v247, v[196:199]
	ds_store_b128 v247, v[200:203] offset:32
	ds_store_b128 v246, v[204:207]
	ds_store_b128 v246, v[208:211] offset:32
	;; [unrolled: 2-line block ×5, first 2 shown]
	s_waitcnt lgkmcnt(0)
	s_barrier
	buffer_gl0_inv
	s_and_saveexec_b32 s0, vcc_lo
	s_cbranch_execz .LBB0_7
; %bb.6:
	ds_load_b128 v[56:59], v12
	ds_load_b128 v[192:195], v12 offset:1152
	ds_load_b128 v[196:199], v12 offset:2304
	;; [unrolled: 1-line block ×12, first 2 shown]
.LBB0_7:
	s_or_b32 exec_lo, exec_lo, s0
	v_add_nc_u32_e32 v238, 0x9c0, v12
	v_add_nc_u32_e32 v237, 0xea0, v12
	s_waitcnt lgkmcnt(0)
	s_barrier
	buffer_gl0_inv
	s_and_saveexec_b32 s33, vcc_lo
	s_cbranch_execz .LBB0_9
; %bb.8:
	v_mul_f64 v[0:1], v[150:151], v[230:231]
	s_mov_b32 s16, 0x4bc48dbf
	s_mov_b32 s17, 0xbfcea1e5
	;; [unrolled: 1-line block ×32, first 2 shown]
	v_mov_b32_e32 v46, v238
	s_delay_alu instid0(VALU_DEP_2) | instskip(SKIP_1) | instid1(VALU_DEP_1)
	v_fma_f64 v[243:244], v[148:149], v[228:229], v[0:1]
	v_mul_f64 v[0:1], v[150:151], v[228:229]
	v_fma_f64 v[228:229], v[148:149], v[230:231], -v[0:1]
	v_mul_f64 v[0:1], v[154:155], v[234:235]
	s_delay_alu instid0(VALU_DEP_1) | instskip(SKIP_2) | instid1(VALU_DEP_2)
	v_fma_f64 v[42:43], v[152:153], v[232:233], v[0:1]
	v_mul_f64 v[0:1], v[154:155], v[232:233]
	v_mov_b32_e32 v47, v237
	v_fma_f64 v[230:231], v[152:153], v[234:235], -v[0:1]
	v_mul_f64 v[0:1], v[114:115], v[210:211]
	s_delay_alu instid0(VALU_DEP_2) | instskip(NEXT) | instid1(VALU_DEP_2)
	v_add_f64 v[247:248], v[228:229], -v[230:231]
	v_fma_f64 v[232:233], v[112:113], v[208:209], v[0:1]
	v_mul_f64 v[0:1], v[114:115], v[208:209]
	s_delay_alu instid0(VALU_DEP_1) | instskip(SKIP_1) | instid1(VALU_DEP_1)
	v_fma_f64 v[234:235], v[112:113], v[210:211], -v[0:1]
	v_mul_f64 v[0:1], v[122:123], v[226:227]
	v_fma_f64 v[208:209], v[120:121], v[224:225], v[0:1]
	v_mul_f64 v[0:1], v[122:123], v[224:225]
	s_delay_alu instid0(VALU_DEP_2) | instskip(NEXT) | instid1(VALU_DEP_2)
	v_add_f64 v[245:246], v[232:233], -v[208:209]
	v_fma_f64 v[210:211], v[120:121], v[226:227], -v[0:1]
	v_mul_f64 v[0:1], v[102:103], v[206:207]
	s_delay_alu instid0(VALU_DEP_2) | instskip(NEXT) | instid1(VALU_DEP_2)
	v_add_f64 v[241:242], v[234:235], -v[210:211]
	v_fma_f64 v[224:225], v[100:101], v[204:205], v[0:1]
	v_mul_f64 v[0:1], v[102:103], v[204:205]
	s_delay_alu instid0(VALU_DEP_1) | instskip(SKIP_1) | instid1(VALU_DEP_1)
	v_fma_f64 v[226:227], v[100:101], v[206:207], -v[0:1]
	v_mul_f64 v[0:1], v[110:111], v[218:219]
	v_fma_f64 v[36:37], v[108:109], v[216:217], v[0:1]
	v_mul_f64 v[0:1], v[110:111], v[216:217]
	v_add_f64 v[216:217], v[228:229], v[230:231]
	s_delay_alu instid0(VALU_DEP_3) | instskip(NEXT) | instid1(VALU_DEP_3)
	v_add_f64 v[239:240], v[224:225], -v[36:37]
	v_fma_f64 v[204:205], v[108:109], v[218:219], -v[0:1]
	v_mul_f64 v[0:1], v[94:95], v[202:203]
	v_add_f64 v[206:207], v[224:225], v[36:37]
	s_delay_alu instid0(VALU_DEP_3) | instskip(NEXT) | instid1(VALU_DEP_3)
	v_add_f64 v[237:238], v[226:227], -v[204:205]
	v_fma_f64 v[150:151], v[92:93], v[200:201], v[0:1]
	v_mul_f64 v[0:1], v[94:95], v[200:201]
	s_delay_alu instid0(VALU_DEP_1) | instskip(SKIP_2) | instid1(VALU_DEP_2)
	v_fma_f64 v[148:149], v[92:93], v[202:203], -v[0:1]
	v_mul_f64 v[0:1], v[98:99], v[222:223]
	v_add_f64 v[202:203], v[226:227], v[204:205]
	v_fma_f64 v[32:33], v[96:97], v[220:221], v[0:1]
	v_mul_f64 v[0:1], v[98:99], v[220:221]
	s_delay_alu instid0(VALU_DEP_1) | instskip(SKIP_1) | instid1(VALU_DEP_1)
	v_fma_f64 v[200:201], v[96:97], v[222:223], -v[0:1]
	v_mul_f64 v[0:1], v[86:87], v[198:199]
	v_fma_f64 v[220:221], v[84:85], v[196:197], v[0:1]
	v_mul_f64 v[0:1], v[86:87], v[196:197]
	s_delay_alu instid0(VALU_DEP_4) | instskip(NEXT) | instid1(VALU_DEP_2)
	v_add_f64 v[196:197], v[148:149], v[200:201]
	v_fma_f64 v[222:223], v[84:85], v[198:199], -v[0:1]
	v_mul_f64 v[0:1], v[90:91], v[214:215]
	v_add_f64 v[198:199], v[150:151], v[32:33]
	s_delay_alu instid0(VALU_DEP_2)
	v_fma_f64 v[24:25], v[88:89], v[212:213], v[0:1]
	v_mul_f64 v[0:1], v[90:91], v[212:213]
	s_clause 0x4
	scratch_store_b32 off, v249, off offset:196
	scratch_store_b32 off, v250, off offset:200
	scratch_store_b64 off, v[24:25], off offset:228
	scratch_store_b32 off, v45, off offset:204
	scratch_store_b32 off, v251, off offset:212
	v_add_f64 v[249:250], v[220:221], -v[24:25]
	v_fma_f64 v[86:87], v[88:89], v[214:215], -v[0:1]
	v_mul_f64 v[0:1], v[50:51], v[194:195]
	v_mov_b32_e32 v45, v252
	s_clause 0x1
	scratch_store_b64 off, v[32:33], off offset:236
	scratch_store_b32 off, v253, off offset:220
	v_add_f64 v[253:254], v[148:149], -v[200:201]
	v_add_f64 v[212:213], v[234:235], v[210:211]
	v_add_f64 v[214:215], v[232:233], v[208:209]
	v_mul_f64 v[18:19], v[249:250], s[28:29]
	v_add_f64 v[251:252], v[222:223], -v[86:87]
	v_fma_f64 v[84:85], v[48:49], v[192:193], v[0:1]
	v_mul_f64 v[0:1], v[50:51], v[192:193]
	v_dual_mov_b32 v50, v243 :: v_dual_mov_b32 v51, v244
	scratch_store_b64 off, v[50:51], off offset:260 ; 8-byte Folded Spill
	v_fma_f64 v[2:3], v[48:49], v[194:195], -v[0:1]
	v_mul_f64 v[0:1], v[66:67], v[158:159]
	v_add_f64 v[194:195], v[220:221], v[24:25]
	v_mul_f64 v[24:25], v[251:252], s[28:29]
	v_dual_mov_b32 v49, v43 :: v_dual_mov_b32 v48, v42
	s_clause 0x1
	scratch_store_b64 off, v[36:37], off offset:244
	scratch_store_b64 off, v[48:49], off offset:252
	v_add_f64 v[243:244], v[50:51], -v[48:49]
	v_add_f64 v[218:219], v[50:51], v[48:49]
	v_fma_f64 v[192:193], v[64:65], v[156:157], v[0:1]
	v_mul_f64 v[0:1], v[66:67], v[156:157]
	v_add_f64 v[156:157], v[222:223], v[86:87]
	v_fma_f64 v[26:27], v[194:195], s[26:27], -v[24:25]
	s_delay_alu instid0(VALU_DEP_4) | instskip(NEXT) | instid1(VALU_DEP_4)
	v_add_f64 v[6:7], v[84:85], -v[192:193]
	v_fma_f64 v[158:159], v[64:65], v[158:159], -v[0:1]
	s_delay_alu instid0(VALU_DEP_4) | instskip(SKIP_1) | instid1(VALU_DEP_4)
	v_fma_f64 v[8:9], v[156:157], s[26:27], v[18:19]
	v_fma_f64 v[18:19], v[156:157], s[26:27], -v[18:19]
	v_mul_f64 v[16:17], v[6:7], s[16:17]
	s_delay_alu instid0(VALU_DEP_4) | instskip(SKIP_2) | instid1(VALU_DEP_3)
	v_add_f64 v[4:5], v[2:3], v[158:159]
	v_add_f64 v[10:11], v[2:3], -v[158:159]
	v_add_f64 v[2:3], v[58:59], v[2:3]
	v_fma_f64 v[0:1], v[4:5], s[0:1], v[16:17]
	s_delay_alu instid0(VALU_DEP_3) | instskip(SKIP_1) | instid1(VALU_DEP_3)
	v_mul_f64 v[22:23], v[10:11], s[16:17]
	v_fma_f64 v[16:17], v[4:5], s[0:1], -v[16:17]
	v_add_f64 v[0:1], v[58:59], v[0:1]
	s_delay_alu instid0(VALU_DEP_2) | instskip(NEXT) | instid1(VALU_DEP_2)
	v_add_f64 v[16:17], v[58:59], v[16:17]
	v_add_f64 v[20:21], v[8:9], v[0:1]
	;; [unrolled: 1-line block ×3, first 2 shown]
	s_delay_alu instid0(VALU_DEP_3) | instskip(NEXT) | instid1(VALU_DEP_2)
	v_add_f64 v[16:17], v[18:19], v[16:17]
	v_fma_f64 v[0:1], v[8:9], s[0:1], -v[22:23]
	v_fma_f64 v[18:19], v[8:9], s[0:1], v[22:23]
	v_fma_f64 v[22:23], v[194:195], s[26:27], v[24:25]
	s_delay_alu instid0(VALU_DEP_3) | instskip(NEXT) | instid1(VALU_DEP_3)
	v_add_f64 v[0:1], v[56:57], v[0:1]
	v_add_f64 v[18:19], v[56:57], v[18:19]
	s_delay_alu instid0(VALU_DEP_2) | instskip(SKIP_1) | instid1(VALU_DEP_3)
	v_add_f64 v[26:27], v[26:27], v[0:1]
	v_add_f64 v[0:1], v[150:151], -v[32:33]
	v_add_f64 v[18:19], v[22:23], v[18:19]
	s_delay_alu instid0(VALU_DEP_2) | instskip(NEXT) | instid1(VALU_DEP_1)
	v_mul_f64 v[28:29], v[0:1], s[18:19]
	v_fma_f64 v[30:31], v[196:197], s[8:9], v[28:29]
	v_fma_f64 v[22:23], v[196:197], s[8:9], -v[28:29]
	s_delay_alu instid0(VALU_DEP_2) | instskip(SKIP_1) | instid1(VALU_DEP_3)
	v_add_f64 v[20:21], v[30:31], v[20:21]
	v_mul_f64 v[30:31], v[253:254], s[18:19]
	v_add_f64 v[16:17], v[22:23], v[16:17]
	s_delay_alu instid0(VALU_DEP_2) | instskip(SKIP_1) | instid1(VALU_DEP_2)
	v_fma_f64 v[32:33], v[198:199], s[8:9], -v[30:31]
	v_fma_f64 v[22:23], v[198:199], s[8:9], v[30:31]
	v_add_f64 v[26:27], v[32:33], v[26:27]
	v_mul_f64 v[32:33], v[239:240], s[34:35]
	s_delay_alu instid0(VALU_DEP_3) | instskip(NEXT) | instid1(VALU_DEP_2)
	v_add_f64 v[18:19], v[22:23], v[18:19]
	v_fma_f64 v[34:35], v[202:203], s[10:11], v[32:33]
	v_fma_f64 v[22:23], v[202:203], s[10:11], -v[32:33]
	s_delay_alu instid0(VALU_DEP_2) | instskip(SKIP_1) | instid1(VALU_DEP_3)
	v_add_f64 v[20:21], v[34:35], v[20:21]
	v_mul_f64 v[34:35], v[237:238], s[34:35]
	v_add_f64 v[16:17], v[22:23], v[16:17]
	s_delay_alu instid0(VALU_DEP_2) | instskip(SKIP_1) | instid1(VALU_DEP_2)
	v_fma_f64 v[36:37], v[206:207], s[10:11], -v[34:35]
	v_fma_f64 v[22:23], v[206:207], s[10:11], v[34:35]
	v_add_f64 v[26:27], v[36:37], v[26:27]
	v_mul_f64 v[36:37], v[245:246], s[20:21]
	s_delay_alu instid0(VALU_DEP_3) | instskip(NEXT) | instid1(VALU_DEP_2)
	v_add_f64 v[18:19], v[22:23], v[18:19]
	;; [unrolled: 13-line block ×3, first 2 shown]
	v_fma_f64 v[42:43], v[216:217], s[14:15], v[40:41]
	v_fma_f64 v[22:23], v[216:217], s[14:15], -v[40:41]
	s_delay_alu instid0(VALU_DEP_2) | instskip(SKIP_1) | instid1(VALU_DEP_3)
	v_add_f64 v[154:155], v[42:43], v[20:21]
	v_mul_f64 v[20:21], v[247:248], s[30:31]
	v_add_f64 v[66:67], v[22:23], v[16:17]
	v_mul_f64 v[16:17], v[6:7], s[18:19]
	s_delay_alu instid0(VALU_DEP_3) | instskip(SKIP_1) | instid1(VALU_DEP_2)
	v_fma_f64 v[42:43], v[218:219], s[14:15], -v[20:21]
	v_fma_f64 v[20:21], v[218:219], s[14:15], v[20:21]
	v_add_f64 v[152:153], v[42:43], v[26:27]
	s_delay_alu instid0(VALU_DEP_2) | instskip(SKIP_4) | instid1(VALU_DEP_4)
	v_add_f64 v[64:65], v[20:21], v[18:19]
	v_fma_f64 v[18:19], v[4:5], s[8:9], v[16:17]
	v_mul_f64 v[20:21], v[249:250], s[30:31]
	v_mul_f64 v[26:27], v[251:252], s[30:31]
	v_fma_f64 v[16:17], v[4:5], s[8:9], -v[16:17]
	v_add_f64 v[18:19], v[58:59], v[18:19]
	s_delay_alu instid0(VALU_DEP_4) | instskip(NEXT) | instid1(VALU_DEP_4)
	v_fma_f64 v[22:23], v[156:157], s[14:15], v[20:21]
	v_fma_f64 v[28:29], v[194:195], s[14:15], -v[26:27]
	v_fma_f64 v[20:21], v[156:157], s[14:15], -v[20:21]
	v_add_f64 v[16:17], v[58:59], v[16:17]
	s_delay_alu instid0(VALU_DEP_4) | instskip(SKIP_1) | instid1(VALU_DEP_3)
	v_add_f64 v[18:19], v[22:23], v[18:19]
	v_mul_f64 v[22:23], v[10:11], s[18:19]
	v_add_f64 v[16:17], v[20:21], v[16:17]
	s_delay_alu instid0(VALU_DEP_2) | instskip(SKIP_3) | instid1(VALU_DEP_4)
	v_fma_f64 v[24:25], v[8:9], s[8:9], -v[22:23]
	v_fma_f64 v[20:21], v[8:9], s[8:9], v[22:23]
	v_fma_f64 v[22:23], v[194:195], s[14:15], v[26:27]
	v_mul_f64 v[26:27], v[251:252], s[36:37]
	v_add_f64 v[24:25], v[56:57], v[24:25]
	s_delay_alu instid0(VALU_DEP_4) | instskip(NEXT) | instid1(VALU_DEP_2)
	v_add_f64 v[20:21], v[56:57], v[20:21]
	v_add_f64 v[24:25], v[28:29], v[24:25]
	v_mul_f64 v[28:29], v[0:1], s[22:23]
	s_delay_alu instid0(VALU_DEP_3) | instskip(NEXT) | instid1(VALU_DEP_2)
	v_add_f64 v[20:21], v[22:23], v[20:21]
	v_fma_f64 v[30:31], v[196:197], s[10:11], v[28:29]
	v_fma_f64 v[22:23], v[196:197], s[10:11], -v[28:29]
	v_fma_f64 v[28:29], v[194:195], s[8:9], -v[26:27]
	s_delay_alu instid0(VALU_DEP_3) | instskip(SKIP_1) | instid1(VALU_DEP_4)
	v_add_f64 v[18:19], v[30:31], v[18:19]
	v_mul_f64 v[30:31], v[253:254], s[22:23]
	v_add_f64 v[16:17], v[22:23], v[16:17]
	s_delay_alu instid0(VALU_DEP_2) | instskip(SKIP_1) | instid1(VALU_DEP_2)
	v_fma_f64 v[32:33], v[198:199], s[10:11], -v[30:31]
	v_fma_f64 v[22:23], v[198:199], s[10:11], v[30:31]
	v_add_f64 v[24:25], v[32:33], v[24:25]
	v_mul_f64 v[32:33], v[239:240], s[38:39]
	s_delay_alu instid0(VALU_DEP_3) | instskip(NEXT) | instid1(VALU_DEP_2)
	v_add_f64 v[20:21], v[22:23], v[20:21]
	v_fma_f64 v[34:35], v[202:203], s[0:1], v[32:33]
	v_fma_f64 v[22:23], v[202:203], s[0:1], -v[32:33]
	s_delay_alu instid0(VALU_DEP_2) | instskip(SKIP_1) | instid1(VALU_DEP_3)
	v_add_f64 v[18:19], v[34:35], v[18:19]
	v_mul_f64 v[34:35], v[237:238], s[38:39]
	v_add_f64 v[16:17], v[22:23], v[16:17]
	s_delay_alu instid0(VALU_DEP_2) | instskip(SKIP_1) | instid1(VALU_DEP_2)
	v_fma_f64 v[36:37], v[206:207], s[0:1], -v[34:35]
	v_fma_f64 v[22:23], v[206:207], s[0:1], v[34:35]
	v_add_f64 v[24:25], v[36:37], v[24:25]
	v_mul_f64 v[36:37], v[245:246], s[28:29]
	s_delay_alu instid0(VALU_DEP_3) | instskip(NEXT) | instid1(VALU_DEP_2)
	v_add_f64 v[20:21], v[22:23], v[20:21]
	v_fma_f64 v[38:39], v[212:213], s[26:27], v[36:37]
	v_fma_f64 v[22:23], v[212:213], s[26:27], -v[36:37]
	s_delay_alu instid0(VALU_DEP_2) | instskip(SKIP_1) | instid1(VALU_DEP_3)
	;; [unrolled: 13-line block ×3, first 2 shown]
	v_add_f64 v[50:51], v[42:43], v[18:19]
	v_mul_f64 v[18:19], v[247:248], s[20:21]
	v_add_f64 v[90:91], v[22:23], v[16:17]
	v_mul_f64 v[16:17], v[6:7], s[20:21]
	s_delay_alu instid0(VALU_DEP_3) | instskip(SKIP_1) | instid1(VALU_DEP_2)
	v_fma_f64 v[42:43], v[218:219], s[12:13], -v[18:19]
	v_fma_f64 v[18:19], v[218:219], s[12:13], v[18:19]
	v_add_f64 v[48:49], v[42:43], v[24:25]
	s_delay_alu instid0(VALU_DEP_2) | instskip(SKIP_3) | instid1(VALU_DEP_3)
	v_add_f64 v[88:89], v[18:19], v[20:21]
	v_fma_f64 v[18:19], v[4:5], s[12:13], v[16:17]
	v_mul_f64 v[20:21], v[249:250], s[36:37]
	v_fma_f64 v[16:17], v[4:5], s[12:13], -v[16:17]
	v_add_f64 v[18:19], v[58:59], v[18:19]
	s_delay_alu instid0(VALU_DEP_3) | instskip(SKIP_1) | instid1(VALU_DEP_4)
	v_fma_f64 v[22:23], v[156:157], s[8:9], v[20:21]
	v_fma_f64 v[20:21], v[156:157], s[8:9], -v[20:21]
	v_add_f64 v[16:17], v[58:59], v[16:17]
	s_delay_alu instid0(VALU_DEP_3) | instskip(SKIP_1) | instid1(VALU_DEP_3)
	v_add_f64 v[18:19], v[22:23], v[18:19]
	v_mul_f64 v[22:23], v[10:11], s[20:21]
	v_add_f64 v[16:17], v[20:21], v[16:17]
	s_delay_alu instid0(VALU_DEP_2) | instskip(SKIP_3) | instid1(VALU_DEP_4)
	v_fma_f64 v[24:25], v[8:9], s[12:13], -v[22:23]
	v_fma_f64 v[20:21], v[8:9], s[12:13], v[22:23]
	v_fma_f64 v[22:23], v[194:195], s[8:9], v[26:27]
	v_mul_f64 v[26:27], v[251:252], s[16:17]
	v_add_f64 v[24:25], v[56:57], v[24:25]
	s_delay_alu instid0(VALU_DEP_4) | instskip(NEXT) | instid1(VALU_DEP_2)
	v_add_f64 v[20:21], v[56:57], v[20:21]
	v_add_f64 v[24:25], v[28:29], v[24:25]
	v_mul_f64 v[28:29], v[0:1], s[28:29]
	s_delay_alu instid0(VALU_DEP_3) | instskip(NEXT) | instid1(VALU_DEP_2)
	v_add_f64 v[20:21], v[22:23], v[20:21]
	v_fma_f64 v[30:31], v[196:197], s[26:27], v[28:29]
	v_fma_f64 v[22:23], v[196:197], s[26:27], -v[28:29]
	v_fma_f64 v[28:29], v[194:195], s[0:1], -v[26:27]
	s_delay_alu instid0(VALU_DEP_3) | instskip(SKIP_1) | instid1(VALU_DEP_4)
	v_add_f64 v[18:19], v[30:31], v[18:19]
	v_mul_f64 v[30:31], v[253:254], s[28:29]
	v_add_f64 v[16:17], v[22:23], v[16:17]
	s_delay_alu instid0(VALU_DEP_2) | instskip(SKIP_1) | instid1(VALU_DEP_2)
	v_fma_f64 v[32:33], v[198:199], s[26:27], -v[30:31]
	v_fma_f64 v[22:23], v[198:199], s[26:27], v[30:31]
	v_add_f64 v[24:25], v[32:33], v[24:25]
	v_mul_f64 v[32:33], v[239:240], s[24:25]
	s_delay_alu instid0(VALU_DEP_3) | instskip(NEXT) | instid1(VALU_DEP_2)
	v_add_f64 v[20:21], v[22:23], v[20:21]
	v_fma_f64 v[34:35], v[202:203], s[14:15], v[32:33]
	v_fma_f64 v[22:23], v[202:203], s[14:15], -v[32:33]
	s_delay_alu instid0(VALU_DEP_2) | instskip(SKIP_1) | instid1(VALU_DEP_3)
	v_add_f64 v[18:19], v[34:35], v[18:19]
	v_mul_f64 v[34:35], v[237:238], s[24:25]
	v_add_f64 v[16:17], v[22:23], v[16:17]
	s_delay_alu instid0(VALU_DEP_2) | instskip(SKIP_1) | instid1(VALU_DEP_2)
	v_fma_f64 v[36:37], v[206:207], s[14:15], -v[34:35]
	v_fma_f64 v[22:23], v[206:207], s[14:15], v[34:35]
	v_add_f64 v[24:25], v[36:37], v[24:25]
	v_mul_f64 v[36:37], v[245:246], s[38:39]
	s_delay_alu instid0(VALU_DEP_3) | instskip(NEXT) | instid1(VALU_DEP_2)
	v_add_f64 v[20:21], v[22:23], v[20:21]
	v_fma_f64 v[38:39], v[212:213], s[0:1], v[36:37]
	v_fma_f64 v[22:23], v[212:213], s[0:1], -v[36:37]
	s_delay_alu instid0(VALU_DEP_2) | instskip(SKIP_1) | instid1(VALU_DEP_3)
	;; [unrolled: 13-line block ×3, first 2 shown]
	v_add_f64 v[94:95], v[42:43], v[18:19]
	v_mul_f64 v[18:19], v[247:248], s[34:35]
	v_add_f64 v[98:99], v[22:23], v[16:17]
	v_mul_f64 v[16:17], v[6:7], s[24:25]
	s_mov_b32 s35, 0x3fedeba7
	s_mov_b32 s34, s20
	s_delay_alu instid0(VALU_DEP_3) | instskip(SKIP_1) | instid1(VALU_DEP_2)
	v_fma_f64 v[42:43], v[218:219], s[10:11], -v[18:19]
	v_fma_f64 v[18:19], v[218:219], s[10:11], v[18:19]
	v_add_f64 v[92:93], v[42:43], v[24:25]
	s_delay_alu instid0(VALU_DEP_2) | instskip(SKIP_3) | instid1(VALU_DEP_3)
	v_add_f64 v[96:97], v[18:19], v[20:21]
	v_fma_f64 v[18:19], v[4:5], s[14:15], v[16:17]
	v_mul_f64 v[20:21], v[249:250], s[16:17]
	v_fma_f64 v[16:17], v[4:5], s[14:15], -v[16:17]
	v_add_f64 v[18:19], v[58:59], v[18:19]
	s_delay_alu instid0(VALU_DEP_3) | instskip(SKIP_1) | instid1(VALU_DEP_4)
	v_fma_f64 v[22:23], v[156:157], s[0:1], v[20:21]
	v_fma_f64 v[20:21], v[156:157], s[0:1], -v[20:21]
	v_add_f64 v[16:17], v[58:59], v[16:17]
	s_delay_alu instid0(VALU_DEP_3) | instskip(SKIP_1) | instid1(VALU_DEP_3)
	v_add_f64 v[18:19], v[22:23], v[18:19]
	v_mul_f64 v[22:23], v[10:11], s[24:25]
	v_add_f64 v[16:17], v[20:21], v[16:17]
	s_delay_alu instid0(VALU_DEP_2) | instskip(SKIP_3) | instid1(VALU_DEP_4)
	v_fma_f64 v[24:25], v[8:9], s[14:15], -v[22:23]
	v_fma_f64 v[20:21], v[8:9], s[14:15], v[22:23]
	v_fma_f64 v[22:23], v[194:195], s[0:1], v[26:27]
	v_mul_f64 v[26:27], v[251:252], s[20:21]
	v_add_f64 v[24:25], v[56:57], v[24:25]
	s_delay_alu instid0(VALU_DEP_4) | instskip(NEXT) | instid1(VALU_DEP_2)
	v_add_f64 v[20:21], v[56:57], v[20:21]
	v_add_f64 v[24:25], v[28:29], v[24:25]
	v_mul_f64 v[28:29], v[0:1], s[34:35]
	s_delay_alu instid0(VALU_DEP_3) | instskip(NEXT) | instid1(VALU_DEP_2)
	v_add_f64 v[20:21], v[22:23], v[20:21]
	v_fma_f64 v[30:31], v[196:197], s[12:13], v[28:29]
	v_fma_f64 v[22:23], v[196:197], s[12:13], -v[28:29]
	v_fma_f64 v[28:29], v[194:195], s[12:13], -v[26:27]
	s_delay_alu instid0(VALU_DEP_3) | instskip(SKIP_1) | instid1(VALU_DEP_4)
	v_add_f64 v[18:19], v[30:31], v[18:19]
	v_mul_f64 v[30:31], v[253:254], s[34:35]
	v_add_f64 v[16:17], v[22:23], v[16:17]
	s_delay_alu instid0(VALU_DEP_2) | instskip(SKIP_1) | instid1(VALU_DEP_2)
	v_fma_f64 v[32:33], v[198:199], s[12:13], -v[30:31]
	v_fma_f64 v[22:23], v[198:199], s[12:13], v[30:31]
	v_add_f64 v[24:25], v[32:33], v[24:25]
	v_mul_f64 v[32:33], v[239:240], s[28:29]
	s_delay_alu instid0(VALU_DEP_3) | instskip(NEXT) | instid1(VALU_DEP_2)
	v_add_f64 v[20:21], v[22:23], v[20:21]
	v_fma_f64 v[34:35], v[202:203], s[26:27], v[32:33]
	v_fma_f64 v[22:23], v[202:203], s[26:27], -v[32:33]
	s_delay_alu instid0(VALU_DEP_2) | instskip(SKIP_1) | instid1(VALU_DEP_3)
	v_add_f64 v[18:19], v[34:35], v[18:19]
	v_mul_f64 v[34:35], v[237:238], s[28:29]
	v_add_f64 v[16:17], v[22:23], v[16:17]
	s_delay_alu instid0(VALU_DEP_2) | instskip(SKIP_1) | instid1(VALU_DEP_2)
	v_fma_f64 v[36:37], v[206:207], s[26:27], -v[34:35]
	v_fma_f64 v[22:23], v[206:207], s[26:27], v[34:35]
	v_add_f64 v[24:25], v[36:37], v[24:25]
	v_mul_f64 v[36:37], v[245:246], s[22:23]
	s_delay_alu instid0(VALU_DEP_3) | instskip(NEXT) | instid1(VALU_DEP_2)
	v_add_f64 v[20:21], v[22:23], v[20:21]
	v_fma_f64 v[38:39], v[212:213], s[10:11], v[36:37]
	v_fma_f64 v[22:23], v[212:213], s[10:11], -v[36:37]
	s_delay_alu instid0(VALU_DEP_2) | instskip(SKIP_1) | instid1(VALU_DEP_3)
	;; [unrolled: 13-line block ×3, first 2 shown]
	v_add_f64 v[102:103], v[42:43], v[18:19]
	v_mul_f64 v[18:19], v[247:248], s[18:19]
	v_add_f64 v[110:111], v[22:23], v[16:17]
	v_mul_f64 v[16:17], v[6:7], s[22:23]
	s_delay_alu instid0(VALU_DEP_3) | instskip(SKIP_1) | instid1(VALU_DEP_2)
	v_fma_f64 v[42:43], v[218:219], s[8:9], -v[18:19]
	v_fma_f64 v[18:19], v[218:219], s[8:9], v[18:19]
	v_add_f64 v[100:101], v[42:43], v[24:25]
	s_delay_alu instid0(VALU_DEP_2) | instskip(SKIP_3) | instid1(VALU_DEP_3)
	v_add_f64 v[108:109], v[18:19], v[20:21]
	v_fma_f64 v[18:19], v[4:5], s[10:11], v[16:17]
	v_mul_f64 v[20:21], v[249:250], s[20:21]
	v_fma_f64 v[16:17], v[4:5], s[10:11], -v[16:17]
	v_add_f64 v[18:19], v[58:59], v[18:19]
	s_delay_alu instid0(VALU_DEP_3) | instskip(SKIP_1) | instid1(VALU_DEP_4)
	v_fma_f64 v[22:23], v[156:157], s[12:13], v[20:21]
	v_fma_f64 v[20:21], v[156:157], s[12:13], -v[20:21]
	v_add_f64 v[16:17], v[58:59], v[16:17]
	s_delay_alu instid0(VALU_DEP_3) | instskip(SKIP_1) | instid1(VALU_DEP_3)
	v_add_f64 v[18:19], v[22:23], v[18:19]
	v_mul_f64 v[22:23], v[10:11], s[22:23]
	v_add_f64 v[16:17], v[20:21], v[16:17]
	s_delay_alu instid0(VALU_DEP_2) | instskip(NEXT) | instid1(VALU_DEP_1)
	v_fma_f64 v[24:25], v[8:9], s[10:11], -v[22:23]
	v_add_f64 v[24:25], v[56:57], v[24:25]
	s_delay_alu instid0(VALU_DEP_1) | instskip(SKIP_1) | instid1(VALU_DEP_1)
	v_add_f64 v[24:25], v[28:29], v[24:25]
	v_mul_f64 v[28:29], v[0:1], s[16:17]
	v_fma_f64 v[30:31], v[196:197], s[0:1], v[28:29]
	v_fma_f64 v[20:21], v[196:197], s[0:1], -v[28:29]
	s_delay_alu instid0(VALU_DEP_2) | instskip(SKIP_1) | instid1(VALU_DEP_3)
	v_add_f64 v[18:19], v[30:31], v[18:19]
	v_mul_f64 v[30:31], v[253:254], s[16:17]
	v_add_f64 v[16:17], v[20:21], v[16:17]
	s_delay_alu instid0(VALU_DEP_2) | instskip(NEXT) | instid1(VALU_DEP_1)
	v_fma_f64 v[32:33], v[198:199], s[0:1], -v[30:31]
	v_add_f64 v[24:25], v[32:33], v[24:25]
	v_mul_f64 v[32:33], v[239:240], s[36:37]
	s_delay_alu instid0(VALU_DEP_1) | instskip(SKIP_1) | instid1(VALU_DEP_2)
	v_fma_f64 v[34:35], v[202:203], s[8:9], v[32:33]
	v_fma_f64 v[20:21], v[202:203], s[8:9], -v[32:33]
	v_add_f64 v[18:19], v[34:35], v[18:19]
	v_mul_f64 v[34:35], v[237:238], s[36:37]
	s_delay_alu instid0(VALU_DEP_3) | instskip(NEXT) | instid1(VALU_DEP_2)
	v_add_f64 v[16:17], v[20:21], v[16:17]
	v_fma_f64 v[36:37], v[206:207], s[8:9], -v[34:35]
	s_delay_alu instid0(VALU_DEP_1) | instskip(SKIP_1) | instid1(VALU_DEP_1)
	v_add_f64 v[24:25], v[36:37], v[24:25]
	v_mul_f64 v[36:37], v[245:246], s[30:31]
	v_fma_f64 v[20:21], v[212:213], s[14:15], -v[36:37]
	v_fma_f64 v[38:39], v[212:213], s[14:15], v[36:37]
	s_delay_alu instid0(VALU_DEP_2) | instskip(SKIP_1) | instid1(VALU_DEP_3)
	v_add_f64 v[16:17], v[20:21], v[16:17]
	v_fma_f64 v[20:21], v[8:9], s[10:11], v[22:23]
	v_add_f64 v[18:19], v[38:39], v[18:19]
	v_mul_f64 v[38:39], v[241:242], s[30:31]
	v_fma_f64 v[22:23], v[194:195], s[12:13], v[26:27]
	s_delay_alu instid0(VALU_DEP_4) | instskip(NEXT) | instid1(VALU_DEP_3)
	v_add_f64 v[20:21], v[56:57], v[20:21]
	v_fma_f64 v[40:41], v[214:215], s[14:15], -v[38:39]
	s_delay_alu instid0(VALU_DEP_2) | instskip(SKIP_1) | instid1(VALU_DEP_3)
	v_add_f64 v[20:21], v[22:23], v[20:21]
	v_fma_f64 v[22:23], v[198:199], s[0:1], v[30:31]
	v_add_f64 v[24:25], v[40:41], v[24:25]
	v_mul_f64 v[40:41], v[243:244], s[28:29]
	v_mul_f64 v[30:31], v[247:248], s[16:17]
	s_delay_alu instid0(VALU_DEP_4) | instskip(SKIP_1) | instid1(VALU_DEP_4)
	v_add_f64 v[20:21], v[22:23], v[20:21]
	v_fma_f64 v[22:23], v[206:207], s[8:9], v[34:35]
	v_fma_f64 v[42:43], v[216:217], s[26:27], v[40:41]
	s_delay_alu instid0(VALU_DEP_2) | instskip(SKIP_1) | instid1(VALU_DEP_3)
	v_add_f64 v[20:21], v[22:23], v[20:21]
	v_fma_f64 v[22:23], v[214:215], s[14:15], v[38:39]
	v_add_f64 v[114:115], v[42:43], v[18:19]
	v_mul_f64 v[18:19], v[247:248], s[28:29]
	s_mov_b32 s29, 0xbfddbe06
	s_delay_alu instid0(SALU_CYCLE_1) | instskip(NEXT) | instid1(VALU_DEP_4)
	v_mul_f64 v[6:7], v[6:7], s[28:29]
	v_add_f64 v[20:21], v[22:23], v[20:21]
	v_fma_f64 v[22:23], v[216:217], s[26:27], -v[40:41]
	s_delay_alu instid0(VALU_DEP_4) | instskip(SKIP_1) | instid1(VALU_DEP_3)
	v_fma_f64 v[42:43], v[218:219], s[26:27], -v[18:19]
	v_fma_f64 v[18:19], v[218:219], s[26:27], v[18:19]
	v_add_f64 v[122:123], v[22:23], v[16:17]
	v_fma_f64 v[16:17], v[4:5], s[26:27], v[6:7]
	v_fma_f64 v[4:5], v[4:5], s[26:27], -v[6:7]
	v_mul_f64 v[6:7], v[10:11], s[28:29]
	v_add_f64 v[120:121], v[18:19], v[20:21]
	v_add_f64 v[112:113], v[42:43], v[24:25]
	;; [unrolled: 1-line block ×4, first 2 shown]
	v_fma_f64 v[10:11], v[8:9], s[26:27], -v[6:7]
	v_fma_f64 v[6:7], v[8:9], s[26:27], v[6:7]
	v_add_f64 v[8:9], v[56:57], v[84:85]
	s_delay_alu instid0(VALU_DEP_3) | instskip(SKIP_1) | instid1(VALU_DEP_4)
	v_add_f64 v[36:37], v[56:57], v[10:11]
	v_mul_f64 v[10:11], v[249:250], s[22:23]
	v_add_f64 v[6:7], v[56:57], v[6:7]
	s_clause 0x1
	scratch_load_b32 v250, off, off offset:200
	scratch_load_b32 v249, off, off offset:196
	v_fma_f64 v[16:17], v[156:157], s[10:11], -v[10:11]
	s_delay_alu instid0(VALU_DEP_1) | instskip(SKIP_1) | instid1(VALU_DEP_1)
	v_add_f64 v[4:5], v[16:17], v[4:5]
	v_mul_f64 v[16:17], v[0:1], s[24:25]
	v_fma_f64 v[0:1], v[196:197], s[14:15], -v[16:17]
	s_delay_alu instid0(VALU_DEP_1) | instskip(SKIP_1) | instid1(VALU_DEP_1)
	v_add_f64 v[0:1], v[0:1], v[4:5]
	v_mul_f64 v[4:5], v[239:240], s[20:21]
	v_fma_f64 v[18:19], v[202:203], s[12:13], -v[4:5]
	v_fma_f64 v[4:5], v[202:203], s[12:13], v[4:5]
	s_delay_alu instid0(VALU_DEP_2) | instskip(SKIP_1) | instid1(VALU_DEP_1)
	v_add_f64 v[0:1], v[18:19], v[0:1]
	v_mul_f64 v[18:19], v[245:246], s[18:19]
	v_fma_f64 v[20:21], v[212:213], s[8:9], -v[18:19]
	s_delay_alu instid0(VALU_DEP_1)
	v_add_f64 v[0:1], v[20:21], v[0:1]
	v_mul_f64 v[20:21], v[251:252], s[22:23]
	v_mov_b32_e32 v252, v45
	s_clause 0x1
	scratch_load_b32 v251, off, off offset:212
	scratch_load_b32 v45, off, off offset:204
	v_fma_f64 v[22:23], v[194:195], s[10:11], v[20:21]
	s_delay_alu instid0(VALU_DEP_1) | instskip(SKIP_4) | instid1(VALU_DEP_1)
	v_add_f64 v[6:7], v[22:23], v[6:7]
	v_mul_f64 v[22:23], v[253:254], s[24:25]
	scratch_load_b32 v253, off, off offset:220 ; 4-byte Folded Reload
	v_lshl_add_u32 v254, v255, 4, v13
	v_fma_f64 v[24:25], v[198:199], s[14:15], v[22:23]
	v_add_f64 v[6:7], v[24:25], v[6:7]
	v_mul_f64 v[24:25], v[237:238], s[20:21]
	v_dual_mov_b32 v238, v46 :: v_dual_mov_b32 v237, v47
	s_delay_alu instid0(VALU_DEP_2) | instskip(NEXT) | instid1(VALU_DEP_1)
	v_fma_f64 v[26:27], v[206:207], s[12:13], v[24:25]
	v_add_f64 v[6:7], v[26:27], v[6:7]
	v_mul_f64 v[26:27], v[241:242], s[18:19]
	s_delay_alu instid0(VALU_DEP_1) | instskip(NEXT) | instid1(VALU_DEP_1)
	v_fma_f64 v[28:29], v[214:215], s[8:9], v[26:27]
	v_add_f64 v[6:7], v[28:29], v[6:7]
	v_mul_f64 v[28:29], v[243:244], s[16:17]
	s_delay_alu instid0(VALU_DEP_1) | instskip(NEXT) | instid1(VALU_DEP_1)
	v_fma_f64 v[32:33], v[216:217], s[0:1], -v[28:29]
	v_add_f64 v[58:59], v[32:33], v[0:1]
	v_fma_f64 v[0:1], v[218:219], s[0:1], v[30:31]
	s_delay_alu instid0(VALU_DEP_1)
	v_add_f64 v[56:57], v[0:1], v[6:7]
	scratch_load_b64 v[6:7], off, off offset:260 ; 8-byte Folded Reload
	v_add_f64 v[0:1], v[2:3], v[222:223]
	v_add_f64 v[2:3], v[8:9], v[220:221]
	v_fma_f64 v[8:9], v[194:195], s[10:11], -v[20:21]
	v_fma_f64 v[20:21], v[206:207], s[12:13], -v[24:25]
	s_delay_alu instid0(VALU_DEP_4) | instskip(NEXT) | instid1(VALU_DEP_4)
	v_add_f64 v[0:1], v[0:1], v[148:149]
	v_add_f64 v[2:3], v[2:3], v[150:151]
	s_delay_alu instid0(VALU_DEP_4) | instskip(NEXT) | instid1(VALU_DEP_3)
	v_add_f64 v[8:9], v[8:9], v[36:37]
	v_add_f64 v[0:1], v[0:1], v[226:227]
	s_delay_alu instid0(VALU_DEP_3) | instskip(NEXT) | instid1(VALU_DEP_2)
	v_add_f64 v[2:3], v[2:3], v[224:225]
	v_add_f64 v[0:1], v[0:1], v[234:235]
	s_delay_alu instid0(VALU_DEP_2) | instskip(NEXT) | instid1(VALU_DEP_2)
	v_add_f64 v[2:3], v[2:3], v[232:233]
	v_add_f64 v[0:1], v[0:1], v[228:229]
	s_delay_alu instid0(VALU_DEP_1) | instskip(NEXT) | instid1(VALU_DEP_1)
	v_add_f64 v[0:1], v[0:1], v[230:231]
	v_add_f64 v[0:1], v[0:1], v[210:211]
	s_delay_alu instid0(VALU_DEP_1) | instskip(NEXT) | instid1(VALU_DEP_1)
	v_add_f64 v[0:1], v[0:1], v[204:205]
	v_add_f64 v[0:1], v[0:1], v[200:201]
	s_waitcnt vmcnt(0)
	v_add_f64 v[2:3], v[2:3], v[6:7]
	scratch_load_b64 v[6:7], off, off offset:252 ; 8-byte Folded Reload
	v_add_f64 v[0:1], v[0:1], v[86:87]
	s_waitcnt vmcnt(0)
	v_add_f64 v[2:3], v[2:3], v[6:7]
	scratch_load_b64 v[6:7], off, off offset:244 ; 8-byte Folded Reload
	v_add_f64 v[2:3], v[2:3], v[208:209]
	s_waitcnt vmcnt(0)
	s_delay_alu instid0(VALU_DEP_1)
	v_add_f64 v[2:3], v[2:3], v[6:7]
	scratch_load_b64 v[6:7], off, off offset:236 ; 8-byte Folded Reload
	s_waitcnt vmcnt(0)
	v_add_f64 v[2:3], v[2:3], v[6:7]
	scratch_load_b64 v[6:7], off, off offset:228 ; 8-byte Folded Reload
	s_waitcnt vmcnt(0)
	v_add_f64 v[6:7], v[2:3], v[6:7]
	v_add_f64 v[2:3], v[0:1], v[158:159]
	s_delay_alu instid0(VALU_DEP_2) | instskip(SKIP_3) | instid1(VALU_DEP_3)
	v_add_f64 v[0:1], v[6:7], v[192:193]
	v_fma_f64 v[6:7], v[156:157], s[10:11], v[10:11]
	v_fma_f64 v[10:11], v[196:197], s[14:15], v[16:17]
	v_fma_f64 v[16:17], v[198:199], s[14:15], -v[22:23]
	v_add_f64 v[6:7], v[6:7], v[34:35]
	s_delay_alu instid0(VALU_DEP_2) | instskip(SKIP_1) | instid1(VALU_DEP_3)
	v_add_f64 v[8:9], v[16:17], v[8:9]
	v_fma_f64 v[16:17], v[214:215], s[8:9], -v[26:27]
	v_add_f64 v[6:7], v[10:11], v[6:7]
	v_fma_f64 v[10:11], v[212:213], s[8:9], v[18:19]
	v_fma_f64 v[18:19], v[218:219], s[0:1], -v[30:31]
	s_delay_alu instid0(VALU_DEP_3) | instskip(SKIP_2) | instid1(VALU_DEP_3)
	v_add_f64 v[4:5], v[4:5], v[6:7]
	v_add_f64 v[6:7], v[20:21], v[8:9]
	v_fma_f64 v[8:9], v[216:217], s[0:1], v[28:29]
	v_add_f64 v[4:5], v[10:11], v[4:5]
	s_delay_alu instid0(VALU_DEP_3) | instskip(NEXT) | instid1(VALU_DEP_2)
	v_add_f64 v[10:11], v[16:17], v[6:7]
	v_add_f64 v[6:7], v[8:9], v[4:5]
	s_delay_alu instid0(VALU_DEP_2) | instskip(SKIP_1) | instid1(VALU_DEP_1)
	v_add_f64 v[4:5], v[18:19], v[10:11]
	v_lshrrev_b32_e32 v8, 2, v255
	v_mul_u32_u24_e32 v8, 52, v8
	s_delay_alu instid0(VALU_DEP_1) | instskip(NEXT) | instid1(VALU_DEP_1)
	v_or_b32_e32 v8, v8, v44
	v_lshl_add_u32 v8, v8, 4, v13
	ds_store_b128 v8, v[120:123] offset:128
	ds_store_b128 v8, v[108:111] offset:192
	;; [unrolled: 1-line block ×11, first 2 shown]
	ds_store_b128 v8, v[0:3]
	ds_store_b128 v8, v[4:7] offset:768
.LBB0_9:
	s_or_b32 exec_lo, exec_lo, s33
	s_waitcnt lgkmcnt(0)
	s_waitcnt_vscnt null, 0x0
	s_barrier
	buffer_gl0_inv
	ds_load_b128 v[0:3], v12 offset:7488
	ds_load_b128 v[4:7], v12 offset:8736
	;; [unrolled: 1-line block ×6, first 2 shown]
	s_mov_b32 s0, 0xe8584caa
	s_mov_b32 s1, 0xbfebb67a
	;; [unrolled: 1-line block ×4, first 2 shown]
	s_waitcnt lgkmcnt(5)
	v_mul_f64 v[16:17], v[54:55], v[2:3]
	v_mul_f64 v[18:19], v[54:55], v[0:1]
	s_waitcnt lgkmcnt(4)
	v_mul_f64 v[20:21], v[62:63], v[6:7]
	v_mul_f64 v[22:23], v[62:63], v[4:5]
	;; [unrolled: 3-line block ×6, first 2 shown]
	v_fma_f64 v[16:17], v[52:53], v[0:1], v[16:17]
	v_fma_f64 v[18:19], v[52:53], v[2:3], -v[18:19]
	v_fma_f64 v[20:21], v[60:61], v[4:5], v[20:21]
	v_fma_f64 v[22:23], v[60:61], v[6:7], -v[22:23]
	;; [unrolled: 2-line block ×6, first 2 shown]
	ds_load_b128 v[0:3], v12
	ds_load_b128 v[4:7], v12 offset:1248
	ds_load_b128 v[8:11], v12 offset:2496
	ds_load_b128 v[48:51], v12 offset:3744
	ds_load_b128 v[52:55], v12 offset:4992
	ds_load_b128 v[56:59], v12 offset:6240
	s_waitcnt lgkmcnt(0)
	s_barrier
	buffer_gl0_inv
	v_add_f64 v[60:61], v[0:1], -v[16:17]
	v_add_f64 v[62:63], v[2:3], -v[18:19]
	;; [unrolled: 1-line block ×12, first 2 shown]
	v_fma_f64 v[0:1], v[0:1], 2.0, -v[60:61]
	v_fma_f64 v[2:3], v[2:3], 2.0, -v[62:63]
	;; [unrolled: 1-line block ×12, first 2 shown]
	ds_store_b128 v249, v[0:3]
	ds_store_b128 v249, v[60:63] offset:832
	ds_store_b128 v253, v[4:7]
	ds_store_b128 v253, v[64:67] offset:832
	;; [unrolled: 2-line block ×6, first 2 shown]
	s_waitcnt lgkmcnt(0)
	s_barrier
	buffer_gl0_inv
	ds_load_b128 v[0:3], v12 offset:4992
	ds_load_b128 v[4:7], v12 offset:9984
	;; [unrolled: 1-line block ×8, first 2 shown]
	s_waitcnt lgkmcnt(7)
	v_mul_f64 v[16:17], v[106:107], v[2:3]
	v_mul_f64 v[18:19], v[106:107], v[0:1]
	s_waitcnt lgkmcnt(6)
	v_mul_f64 v[20:21], v[118:119], v[6:7]
	v_mul_f64 v[22:23], v[118:119], v[4:5]
	;; [unrolled: 3-line block ×8, first 2 shown]
	v_fma_f64 v[16:17], v[104:105], v[0:1], v[16:17]
	v_fma_f64 v[18:19], v[104:105], v[2:3], -v[18:19]
	v_fma_f64 v[20:21], v[116:117], v[4:5], v[20:21]
	v_fma_f64 v[22:23], v[116:117], v[6:7], -v[22:23]
	;; [unrolled: 2-line block ×8, first 2 shown]
	ds_load_b128 v[0:3], v12
	ds_load_b128 v[4:7], v12 offset:1248
	ds_load_b128 v[8:11], v12 offset:2496
	;; [unrolled: 1-line block ×3, first 2 shown]
	s_waitcnt lgkmcnt(0)
	s_barrier
	buffer_gl0_inv
	v_add_f64 v[68:69], v[0:1], v[16:17]
	v_add_f64 v[52:53], v[16:17], v[20:21]
	;; [unrolled: 1-line block ×3, first 2 shown]
	v_add_f64 v[70:71], v[18:19], -v[22:23]
	v_add_f64 v[18:19], v[2:3], v[18:19]
	v_add_f64 v[56:57], v[24:25], v[28:29]
	;; [unrolled: 1-line block ×3, first 2 shown]
	v_add_f64 v[16:17], v[16:17], -v[20:21]
	v_add_f64 v[72:73], v[4:5], v[24:25]
	v_add_f64 v[60:61], v[32:33], v[36:37]
	;; [unrolled: 1-line block ×4, first 2 shown]
	v_add_f64 v[26:27], v[26:27], -v[30:31]
	v_add_f64 v[24:25], v[24:25], -v[28:29]
	v_add_f64 v[64:65], v[40:41], v[44:45]
	v_add_f64 v[66:67], v[42:43], v[46:47]
	;; [unrolled: 1-line block ×4, first 2 shown]
	v_add_f64 v[34:35], v[34:35], -v[38:39]
	v_add_f64 v[32:33], v[32:33], -v[36:37]
	v_add_f64 v[80:81], v[48:49], v[40:41]
	v_add_f64 v[82:83], v[50:51], v[42:43]
	v_add_f64 v[42:43], v[42:43], -v[46:47]
	v_add_f64 v[40:41], v[40:41], -v[44:45]
	v_fma_f64 v[84:85], v[52:53], -0.5, v[0:1]
	v_fma_f64 v[86:87], v[54:55], -0.5, v[2:3]
	v_add_f64 v[0:1], v[68:69], v[20:21]
	v_add_f64 v[2:3], v[18:19], v[22:23]
	v_fma_f64 v[88:89], v[56:57], -0.5, v[4:5]
	v_fma_f64 v[90:91], v[58:59], -0.5, v[6:7]
	v_add_f64 v[4:5], v[72:73], v[28:29]
	v_fma_f64 v[92:93], v[60:61], -0.5, v[8:9]
	v_fma_f64 v[94:95], v[62:63], -0.5, v[10:11]
	;; [unrolled: 3-line block ×3, first 2 shown]
	v_add_f64 v[8:9], v[76:77], v[36:37]
	v_add_f64 v[10:11], v[78:79], v[38:39]
	;; [unrolled: 1-line block ×4, first 2 shown]
	v_fma_f64 v[52:53], v[70:71], s[0:1], v[84:85]
	v_fma_f64 v[54:55], v[16:17], s[8:9], v[86:87]
	;; [unrolled: 1-line block ×12, first 2 shown]
	ds_store_b128 v12, v[0:3]
	ds_store_b128 v12, v[52:55] offset:1664
	ds_store_b128 v12, v[56:59] offset:3328
	ds_store_b128 v14, v[4:7]
	ds_store_b128 v14, v[60:63] offset:1664
	ds_store_b128 v14, v[64:67] offset:3328
	;; [unrolled: 3-line block ×3, first 2 shown]
	scratch_load_b32 v0, off, off offset:192 ; 4-byte Folded Reload
	v_fma_f64 v[76:77], v[42:43], s[0:1], v[96:97]
	v_fma_f64 v[78:79], v[40:41], s[8:9], v[98:99]
	;; [unrolled: 1-line block ×4, first 2 shown]
	s_waitcnt vmcnt(0)
	ds_store_b128 v0, v[48:51] offset:9984
	ds_store_b128 v0, v[76:79] offset:11648
	;; [unrolled: 1-line block ×3, first 2 shown]
	s_waitcnt lgkmcnt(0)
	s_barrier
	buffer_gl0_inv
	ds_load_b128 v[0:3], v12 offset:4992
	ds_load_b128 v[4:7], v12 offset:9984
	;; [unrolled: 1-line block ×8, first 2 shown]
	s_waitcnt lgkmcnt(7)
	v_mul_f64 v[13:14], v[162:163], v[2:3]
	v_mul_f64 v[15:16], v[162:163], v[0:1]
	s_waitcnt lgkmcnt(6)
	v_mul_f64 v[17:18], v[166:167], v[6:7]
	v_mul_f64 v[19:20], v[166:167], v[4:5]
	;; [unrolled: 3-line block ×8, first 2 shown]
	v_fma_f64 v[13:14], v[160:161], v[0:1], v[13:14]
	v_fma_f64 v[15:16], v[160:161], v[2:3], -v[15:16]
	v_fma_f64 v[17:18], v[164:165], v[4:5], v[17:18]
	v_fma_f64 v[19:20], v[164:165], v[6:7], -v[19:20]
	;; [unrolled: 2-line block ×8, first 2 shown]
	ds_load_b128 v[0:3], v12
	ds_load_b128 v[4:7], v12 offset:1248
	ds_load_b128 v[8:11], v12 offset:2496
	;; [unrolled: 1-line block ×3, first 2 shown]
	s_waitcnt lgkmcnt(3)
	v_add_f64 v[66:67], v[0:1], v[13:14]
	v_add_f64 v[45:46], v[13:14], v[17:18]
	;; [unrolled: 1-line block ×3, first 2 shown]
	v_add_f64 v[68:69], v[15:16], -v[19:20]
	v_add_f64 v[15:16], v[2:3], v[15:16]
	v_add_f64 v[54:55], v[21:22], v[25:26]
	;; [unrolled: 1-line block ×3, first 2 shown]
	v_add_f64 v[13:14], v[13:14], -v[17:18]
	s_waitcnt lgkmcnt(2)
	v_add_f64 v[70:71], v[4:5], v[21:22]
	v_add_f64 v[58:59], v[29:30], v[33:34]
	;; [unrolled: 1-line block ×4, first 2 shown]
	v_add_f64 v[23:24], v[23:24], -v[27:28]
	v_add_f64 v[62:63], v[37:38], v[41:42]
	v_add_f64 v[64:65], v[39:40], v[43:44]
	v_add_f64 v[21:22], v[21:22], -v[25:26]
	s_waitcnt lgkmcnt(1)
	v_add_f64 v[74:75], v[8:9], v[29:30]
	v_add_f64 v[76:77], v[10:11], v[31:32]
	v_add_f64 v[31:32], v[31:32], -v[35:36]
	v_add_f64 v[29:30], v[29:30], -v[33:34]
	s_waitcnt lgkmcnt(0)
	v_add_f64 v[78:79], v[48:49], v[37:38]
	v_add_f64 v[80:81], v[50:51], v[39:40]
	v_add_f64 v[39:40], v[39:40], -v[43:44]
	v_add_f64 v[37:38], v[37:38], -v[41:42]
	v_fma_f64 v[45:46], v[45:46], -0.5, v[0:1]
	v_fma_f64 v[82:83], v[52:53], -0.5, v[2:3]
	v_add_f64 v[0:1], v[66:67], v[17:18]
	v_add_f64 v[2:3], v[15:16], v[19:20]
	v_fma_f64 v[84:85], v[54:55], -0.5, v[4:5]
	v_fma_f64 v[86:87], v[56:57], -0.5, v[6:7]
	v_mad_u64_u32 v[15:16], null, s4, v255, 0
	v_fma_f64 v[88:89], v[58:59], -0.5, v[8:9]
	v_fma_f64 v[90:91], v[60:61], -0.5, v[10:11]
	v_add_f64 v[4:5], v[70:71], v[25:26]
	v_add_f64 v[6:7], v[72:73], v[27:28]
	v_fma_f64 v[92:93], v[62:63], -0.5, v[48:49]
	v_fma_f64 v[94:95], v[64:65], -0.5, v[50:51]
	v_add_f64 v[8:9], v[74:75], v[33:34]
	v_add_f64 v[10:11], v[76:77], v[35:36]
	;; [unrolled: 1-line block ×4, first 2 shown]
	v_fma_f64 v[52:53], v[68:69], s[0:1], v[45:46]
	v_fma_f64 v[54:55], v[13:14], s[8:9], v[82:83]
	;; [unrolled: 1-line block ×12, first 2 shown]
	v_mad_u64_u32 v[13:14], null, s6, v236, 0
	v_fma_f64 v[76:77], v[39:40], s[0:1], v[92:93]
	v_fma_f64 v[78:79], v[37:38], s[8:9], v[94:95]
	;; [unrolled: 1-line block ×4, first 2 shown]
	s_mul_i32 s8, s5, 0x1d40
	ds_store_b128 v12, v[0:3]
	ds_store_b128 v12, v[52:55] offset:4992
	ds_store_b128 v254, v[56:59] offset:9984
	;; [unrolled: 1-line block ×11, first 2 shown]
	v_mad_u64_u32 v[17:18], null, s7, v236, v[14:15]
	v_mov_b32_e32 v14, v16
	s_waitcnt lgkmcnt(0)
	s_barrier
	buffer_gl0_inv
	ds_load_b128 v[0:3], v12
	ds_load_b128 v[8:11], v12 offset:1248
	v_mad_u64_u32 v[18:19], null, s5, v255, v[14:15]
	v_mov_b32_e32 v14, v17
	ds_load_b128 v[4:7], v12 offset:7488
	ds_load_b128 v[48:51], v12 offset:8736
	;; [unrolled: 1-line block ×6, first 2 shown]
	s_mul_hi_u32 s9, s4, 0x1d40
	v_lshlrev_b64 v[13:14], 4, v[13:14]
	v_mov_b32_e32 v16, v18
	s_mul_i32 s0, s4, 0x1d40
	s_mul_i32 s6, s5, 0xffffe7a0
	s_add_i32 s5, s9, s8
	s_mul_hi_u32 s7, s4, 0xffffe7a0
	v_add_co_u32 v98, vcc_lo, s2, v13
	v_lshlrev_b64 v[16:17], 4, v[15:16]
	v_add_co_ci_u32_e32 v99, vcc_lo, s3, v14, vcc_lo
	ds_load_b128 v[68:71], v12 offset:4992
	ds_load_b128 v[72:75], v12 offset:6240
	ds_load_b128 v[76:79], v12 offset:12480
	ds_load_b128 v[12:15], v12 offset:13728
	s_clause 0x2
	scratch_load_b128 v[104:107], off, off
	scratch_load_b128 v[116:119], off, off offset:80
	scratch_load_b128 v[124:127], off, off offset:112
	v_add_co_u32 v98, vcc_lo, v98, v16
	v_add_co_ci_u32_e32 v99, vcc_lo, v99, v17, vcc_lo
	s_mul_i32 s1, s4, 0xffffe7a0
	s_delay_alu instid0(VALU_DEP_2) | instskip(NEXT) | instid1(VALU_DEP_2)
	v_add_co_u32 v100, vcc_lo, v98, s0
	v_add_co_ci_u32_e32 v101, vcc_lo, s5, v99, vcc_lo
	s_sub_i32 s2, s7, s4
	s_delay_alu instid0(VALU_DEP_2)
	v_add_co_u32 v102, vcc_lo, v100, s1
	s_add_i32 s4, s2, s6
	s_mov_b32 s2, 0x11811812
	v_add_co_ci_u32_e32 v103, vcc_lo, s4, v101, vcc_lo
	s_mov_b32 s3, 0x3f518118
	scratch_load_b128 v[120:123], off, off offset:96 ; 16-byte Folded Reload
	s_waitcnt vmcnt(3) lgkmcnt(11)
	v_mul_f64 v[18:19], v[106:107], v[2:3]
	v_mul_f64 v[20:21], v[106:107], v[0:1]
	scratch_load_b128 v[106:109], off, off offset:16 ; 16-byte Folded Reload
	s_waitcnt vmcnt(3) lgkmcnt(5)
	v_mul_f64 v[38:39], v[118:119], v[62:63]
	v_mul_f64 v[40:41], v[118:119], v[60:61]
	s_waitcnt vmcnt(1)
	v_mul_f64 v[30:31], v[122:123], v[50:51]
	v_mul_f64 v[32:33], v[122:123], v[48:49]
	v_fma_f64 v[0:1], v[104:105], v[0:1], v[18:19]
	v_fma_f64 v[2:3], v[104:105], v[2:3], -v[20:21]
	s_delay_alu instid0(VALU_DEP_4) | instskip(NEXT) | instid1(VALU_DEP_4)
	v_fma_f64 v[16:17], v[120:121], v[48:49], v[30:31]
	v_fma_f64 v[18:19], v[120:121], v[50:51], -v[32:33]
	s_delay_alu instid0(VALU_DEP_4) | instskip(NEXT) | instid1(VALU_DEP_4)
	v_mul_f64 v[0:1], v[0:1], s[2:3]
	v_mul_f64 v[2:3], v[2:3], s[2:3]
	s_waitcnt vmcnt(0)
	v_mul_f64 v[26:27], v[108:109], v[10:11]
	v_mul_f64 v[28:29], v[108:109], v[8:9]
	scratch_load_b128 v[108:111], off, off offset:32 ; 16-byte Folded Reload
	v_mul_f64 v[22:23], v[126:127], v[6:7]
	v_mul_f64 v[24:25], v[126:127], v[4:5]
	scratch_load_b128 v[126:129], off, off offset:128 ; 16-byte Folded Reload
	v_fma_f64 v[8:9], v[106:107], v[8:9], v[26:27]
	v_fma_f64 v[10:11], v[106:107], v[10:11], -v[28:29]
	v_fma_f64 v[26:27], v[116:117], v[62:63], -v[40:41]
	v_fma_f64 v[4:5], v[124:125], v[4:5], v[22:23]
	v_fma_f64 v[6:7], v[124:125], v[6:7], -v[24:25]
	v_fma_f64 v[24:25], v[116:117], v[60:61], v[38:39]
	v_mul_f64 v[8:9], v[8:9], s[2:3]
	v_mul_f64 v[10:11], v[10:11], s[2:3]
	;; [unrolled: 1-line block ×4, first 2 shown]
	s_waitcnt vmcnt(1)
	v_mul_f64 v[34:35], v[110:111], v[54:55]
	v_mul_f64 v[36:37], v[110:111], v[52:53]
	scratch_load_b128 v[110:113], off, off offset:48 ; 16-byte Folded Reload
	s_waitcnt vmcnt(1) lgkmcnt(3)
	v_mul_f64 v[82:83], v[128:129], v[70:71]
	v_mul_f64 v[84:85], v[128:129], v[68:69]
	scratch_load_b128 v[128:131], off, off offset:144 ; 16-byte Folded Reload
	v_fma_f64 v[20:21], v[108:109], v[52:53], v[34:35]
	v_fma_f64 v[22:23], v[108:109], v[54:55], -v[36:37]
	v_add_co_u32 v52, vcc_lo, v102, s0
	v_add_co_ci_u32_e32 v53, vcc_lo, s5, v103, vcc_lo
	v_fma_f64 v[36:37], v[126:127], v[68:69], v[82:83]
	v_fma_f64 v[38:39], v[126:127], v[70:71], -v[84:85]
	s_delay_alu instid0(VALU_DEP_4) | instskip(NEXT) | instid1(VALU_DEP_4)
	v_add_co_u32 v54, vcc_lo, v52, s1
	v_add_co_ci_u32_e32 v55, vcc_lo, s4, v53, vcc_lo
	s_waitcnt vmcnt(1)
	v_mul_f64 v[42:43], v[112:113], v[58:59]
	v_mul_f64 v[44:45], v[112:113], v[56:57]
	scratch_load_b128 v[112:115], off, off offset:64 ; 16-byte Folded Reload
	s_waitcnt vmcnt(1) lgkmcnt(1)
	v_mul_f64 v[86:87], v[130:131], v[78:79]
	v_mul_f64 v[88:89], v[130:131], v[76:77]
	scratch_load_b128 v[130:133], off, off offset:160 ; 16-byte Folded Reload
	v_fma_f64 v[28:29], v[110:111], v[56:57], v[42:43]
	v_fma_f64 v[30:31], v[110:111], v[58:59], -v[44:45]
	v_add_co_u32 v56, vcc_lo, v54, s0
	v_add_co_ci_u32_e32 v57, vcc_lo, s5, v55, vcc_lo
	v_fma_f64 v[40:41], v[128:129], v[76:77], v[86:87]
	v_fma_f64 v[42:43], v[128:129], v[78:79], -v[88:89]
	s_waitcnt vmcnt(1)
	v_mul_f64 v[46:47], v[114:115], v[66:67]
	v_mul_f64 v[80:81], v[114:115], v[64:65]
	s_waitcnt vmcnt(0)
	v_mul_f64 v[90:91], v[132:133], v[74:75]
	v_mul_f64 v[92:93], v[132:133], v[72:73]
	scratch_load_b128 v[132:135], off, off offset:176 ; 16-byte Folded Reload
	v_fma_f64 v[32:33], v[112:113], v[64:65], v[46:47]
	v_fma_f64 v[34:35], v[112:113], v[66:67], -v[80:81]
	v_fma_f64 v[44:45], v[130:131], v[72:73], v[90:91]
	v_fma_f64 v[46:47], v[130:131], v[74:75], -v[92:93]
	s_waitcnt vmcnt(0) lgkmcnt(0)
	v_mul_f64 v[94:95], v[134:135], v[14:15]
	v_mul_f64 v[96:97], v[134:135], v[12:13]
	s_delay_alu instid0(VALU_DEP_2) | instskip(NEXT) | instid1(VALU_DEP_2)
	v_fma_f64 v[48:49], v[132:133], v[12:13], v[94:95]
	v_fma_f64 v[50:51], v[132:133], v[14:15], -v[96:97]
	v_mul_f64 v[12:13], v[16:17], s[2:3]
	v_mul_f64 v[14:15], v[18:19], s[2:3]
	;; [unrolled: 1-line block ×18, first 2 shown]
	v_add_co_u32 v48, vcc_lo, v56, s1
	v_add_co_ci_u32_e32 v49, vcc_lo, s4, v57, vcc_lo
	s_delay_alu instid0(VALU_DEP_2) | instskip(NEXT) | instid1(VALU_DEP_2)
	v_add_co_u32 v50, vcc_lo, v48, s0
	v_add_co_ci_u32_e32 v51, vcc_lo, s5, v49, vcc_lo
	s_delay_alu instid0(VALU_DEP_2) | instskip(NEXT) | instid1(VALU_DEP_2)
	;; [unrolled: 3-line block ×5, first 2 shown]
	v_add_co_u32 v64, vcc_lo, v62, s0
	v_add_co_ci_u32_e32 v65, vcc_lo, s5, v63, vcc_lo
	s_clause 0x4
	global_store_b128 v[98:99], v[0:3], off
	global_store_b128 v[100:101], v[4:7], off
	;; [unrolled: 1-line block ×12, first 2 shown]
.LBB0_10:
	s_nop 0
	s_sendmsg sendmsg(MSG_DEALLOC_VGPRS)
	s_endpgm
	.section	.rodata,"a",@progbits
	.p2align	6, 0x0
	.amdhsa_kernel bluestein_single_fwd_len936_dim1_dp_op_CI_CI
		.amdhsa_group_segment_fixed_size 44928
		.amdhsa_private_segment_fixed_size 288
		.amdhsa_kernarg_size 104
		.amdhsa_user_sgpr_count 15
		.amdhsa_user_sgpr_dispatch_ptr 0
		.amdhsa_user_sgpr_queue_ptr 0
		.amdhsa_user_sgpr_kernarg_segment_ptr 1
		.amdhsa_user_sgpr_dispatch_id 0
		.amdhsa_user_sgpr_private_segment_size 0
		.amdhsa_wavefront_size32 1
		.amdhsa_uses_dynamic_stack 0
		.amdhsa_enable_private_segment 1
		.amdhsa_system_sgpr_workgroup_id_x 1
		.amdhsa_system_sgpr_workgroup_id_y 0
		.amdhsa_system_sgpr_workgroup_id_z 0
		.amdhsa_system_sgpr_workgroup_info 0
		.amdhsa_system_vgpr_workitem_id 0
		.amdhsa_next_free_vgpr 256
		.amdhsa_next_free_sgpr 48
		.amdhsa_reserve_vcc 1
		.amdhsa_float_round_mode_32 0
		.amdhsa_float_round_mode_16_64 0
		.amdhsa_float_denorm_mode_32 3
		.amdhsa_float_denorm_mode_16_64 3
		.amdhsa_dx10_clamp 1
		.amdhsa_ieee_mode 1
		.amdhsa_fp16_overflow 0
		.amdhsa_workgroup_processor_mode 1
		.amdhsa_memory_ordered 1
		.amdhsa_forward_progress 0
		.amdhsa_shared_vgpr_count 0
		.amdhsa_exception_fp_ieee_invalid_op 0
		.amdhsa_exception_fp_denorm_src 0
		.amdhsa_exception_fp_ieee_div_zero 0
		.amdhsa_exception_fp_ieee_overflow 0
		.amdhsa_exception_fp_ieee_underflow 0
		.amdhsa_exception_fp_ieee_inexact 0
		.amdhsa_exception_int_div_zero 0
	.end_amdhsa_kernel
	.text
.Lfunc_end0:
	.size	bluestein_single_fwd_len936_dim1_dp_op_CI_CI, .Lfunc_end0-bluestein_single_fwd_len936_dim1_dp_op_CI_CI
                                        ; -- End function
	.section	.AMDGPU.csdata,"",@progbits
; Kernel info:
; codeLenInByte = 22980
; NumSgprs: 50
; NumVgprs: 256
; ScratchSize: 288
; MemoryBound: 0
; FloatMode: 240
; IeeeMode: 1
; LDSByteSize: 44928 bytes/workgroup (compile time only)
; SGPRBlocks: 6
; VGPRBlocks: 31
; NumSGPRsForWavesPerEU: 50
; NumVGPRsForWavesPerEU: 256
; Occupancy: 4
; WaveLimiterHint : 1
; COMPUTE_PGM_RSRC2:SCRATCH_EN: 1
; COMPUTE_PGM_RSRC2:USER_SGPR: 15
; COMPUTE_PGM_RSRC2:TRAP_HANDLER: 0
; COMPUTE_PGM_RSRC2:TGID_X_EN: 1
; COMPUTE_PGM_RSRC2:TGID_Y_EN: 0
; COMPUTE_PGM_RSRC2:TGID_Z_EN: 0
; COMPUTE_PGM_RSRC2:TIDIG_COMP_CNT: 0
	.text
	.p2alignl 7, 3214868480
	.fill 96, 4, 3214868480
	.type	__hip_cuid_a27c01659a5b709,@object ; @__hip_cuid_a27c01659a5b709
	.section	.bss,"aw",@nobits
	.globl	__hip_cuid_a27c01659a5b709
__hip_cuid_a27c01659a5b709:
	.byte	0                               ; 0x0
	.size	__hip_cuid_a27c01659a5b709, 1

	.ident	"AMD clang version 19.0.0git (https://github.com/RadeonOpenCompute/llvm-project roc-6.4.0 25133 c7fe45cf4b819c5991fe208aaa96edf142730f1d)"
	.section	".note.GNU-stack","",@progbits
	.addrsig
	.addrsig_sym __hip_cuid_a27c01659a5b709
	.amdgpu_metadata
---
amdhsa.kernels:
  - .args:
      - .actual_access:  read_only
        .address_space:  global
        .offset:         0
        .size:           8
        .value_kind:     global_buffer
      - .actual_access:  read_only
        .address_space:  global
        .offset:         8
        .size:           8
        .value_kind:     global_buffer
      - .actual_access:  read_only
        .address_space:  global
        .offset:         16
        .size:           8
        .value_kind:     global_buffer
      - .actual_access:  read_only
        .address_space:  global
        .offset:         24
        .size:           8
        .value_kind:     global_buffer
      - .actual_access:  read_only
        .address_space:  global
        .offset:         32
        .size:           8
        .value_kind:     global_buffer
      - .offset:         40
        .size:           8
        .value_kind:     by_value
      - .address_space:  global
        .offset:         48
        .size:           8
        .value_kind:     global_buffer
      - .address_space:  global
        .offset:         56
        .size:           8
        .value_kind:     global_buffer
      - .address_space:  global
        .offset:         64
        .size:           8
        .value_kind:     global_buffer
      - .address_space:  global
        .offset:         72
        .size:           8
        .value_kind:     global_buffer
      - .offset:         80
        .size:           4
        .value_kind:     by_value
      - .address_space:  global
        .offset:         88
        .size:           8
        .value_kind:     global_buffer
      - .address_space:  global
        .offset:         96
        .size:           8
        .value_kind:     global_buffer
    .group_segment_fixed_size: 44928
    .kernarg_segment_align: 8
    .kernarg_segment_size: 104
    .language:       OpenCL C
    .language_version:
      - 2
      - 0
    .max_flat_workgroup_size: 234
    .name:           bluestein_single_fwd_len936_dim1_dp_op_CI_CI
    .private_segment_fixed_size: 288
    .sgpr_count:     50
    .sgpr_spill_count: 0
    .symbol:         bluestein_single_fwd_len936_dim1_dp_op_CI_CI.kd
    .uniform_work_group_size: 1
    .uses_dynamic_stack: false
    .vgpr_count:     256
    .vgpr_spill_count: 87
    .wavefront_size: 32
    .workgroup_processor_mode: 1
amdhsa.target:   amdgcn-amd-amdhsa--gfx1100
amdhsa.version:
  - 1
  - 2
...

	.end_amdgpu_metadata
